;; amdgpu-corpus repo=ROCm/rocFFT kind=compiled arch=gfx1201 opt=O3
	.text
	.amdgcn_target "amdgcn-amd-amdhsa--gfx1201"
	.amdhsa_code_object_version 6
	.protected	fft_rtc_back_len1600_factors_10_16_10_wgs_200_tpt_100_halfLds_dp_op_CI_CI_sbrr_dirReg ; -- Begin function fft_rtc_back_len1600_factors_10_16_10_wgs_200_tpt_100_halfLds_dp_op_CI_CI_sbrr_dirReg
	.globl	fft_rtc_back_len1600_factors_10_16_10_wgs_200_tpt_100_halfLds_dp_op_CI_CI_sbrr_dirReg
	.p2align	8
	.type	fft_rtc_back_len1600_factors_10_16_10_wgs_200_tpt_100_halfLds_dp_op_CI_CI_sbrr_dirReg,@function
fft_rtc_back_len1600_factors_10_16_10_wgs_200_tpt_100_halfLds_dp_op_CI_CI_sbrr_dirReg: ; @fft_rtc_back_len1600_factors_10_16_10_wgs_200_tpt_100_halfLds_dp_op_CI_CI_sbrr_dirReg
; %bb.0:
	s_clause 0x2
	s_load_b128 s[8:11], s[0:1], 0x18
	s_load_b128 s[12:15], s[0:1], 0x0
	;; [unrolled: 1-line block ×3, first 2 shown]
	v_mul_u32_u24_e32 v1, 0x290, v0
	v_mov_b32_e32 v3, 0
	s_wait_kmcnt 0x0
	s_load_b64 s[18:19], s[8:9], 0x0
	s_load_b64 s[16:17], s[10:11], 0x0
	v_lshrrev_b32_e32 v129, 16, v1
	v_cmp_lt_u64_e64 s2, s[14:15], 2
	v_mov_b32_e32 v1, 0
	v_mov_b32_e32 v2, 0
	;; [unrolled: 1-line block ×3, first 2 shown]
	v_lshl_add_u32 v5, ttmp9, 1, v129
	s_and_b32 vcc_lo, exec_lo, s2
	s_cbranch_vccnz .LBB0_8
; %bb.1:
	s_load_b64 s[2:3], s[0:1], 0x10
	v_mov_b32_e32 v1, 0
	v_mov_b32_e32 v2, 0
	s_add_nc_u64 s[20:21], s[10:11], 8
	s_add_nc_u64 s[22:23], s[8:9], 8
	s_mov_b64 s[24:25], 1
	s_delay_alu instid0(VALU_DEP_1)
	v_dual_mov_b32 v87, v2 :: v_dual_mov_b32 v86, v1
	s_wait_kmcnt 0x0
	s_add_nc_u64 s[26:27], s[2:3], 8
	s_mov_b32 s3, 0
.LBB0_2:                                ; =>This Inner Loop Header: Depth=1
	s_load_b64 s[28:29], s[26:27], 0x0
                                        ; implicit-def: $vgpr88_vgpr89
	s_mov_b32 s2, exec_lo
	s_wait_kmcnt 0x0
	v_or_b32_e32 v4, s29, v6
	s_delay_alu instid0(VALU_DEP_1)
	v_cmpx_ne_u64_e32 0, v[3:4]
	s_wait_alu 0xfffe
	s_xor_b32 s30, exec_lo, s2
	s_cbranch_execz .LBB0_4
; %bb.3:                                ;   in Loop: Header=BB0_2 Depth=1
	s_cvt_f32_u32 s2, s28
	s_cvt_f32_u32 s31, s29
	s_sub_nc_u64 s[36:37], 0, s[28:29]
	s_wait_alu 0xfffe
	s_delay_alu instid0(SALU_CYCLE_1) | instskip(SKIP_1) | instid1(SALU_CYCLE_2)
	s_fmamk_f32 s2, s31, 0x4f800000, s2
	s_wait_alu 0xfffe
	v_s_rcp_f32 s2, s2
	s_delay_alu instid0(TRANS32_DEP_1) | instskip(SKIP_1) | instid1(SALU_CYCLE_2)
	s_mul_f32 s2, s2, 0x5f7ffffc
	s_wait_alu 0xfffe
	s_mul_f32 s31, s2, 0x2f800000
	s_wait_alu 0xfffe
	s_delay_alu instid0(SALU_CYCLE_2) | instskip(SKIP_1) | instid1(SALU_CYCLE_2)
	s_trunc_f32 s31, s31
	s_wait_alu 0xfffe
	s_fmamk_f32 s2, s31, 0xcf800000, s2
	s_cvt_u32_f32 s35, s31
	s_wait_alu 0xfffe
	s_delay_alu instid0(SALU_CYCLE_1) | instskip(SKIP_1) | instid1(SALU_CYCLE_2)
	s_cvt_u32_f32 s34, s2
	s_wait_alu 0xfffe
	s_mul_u64 s[38:39], s[36:37], s[34:35]
	s_wait_alu 0xfffe
	s_mul_hi_u32 s41, s34, s39
	s_mul_i32 s40, s34, s39
	s_mul_hi_u32 s2, s34, s38
	s_mul_i32 s33, s35, s38
	s_wait_alu 0xfffe
	s_add_nc_u64 s[40:41], s[2:3], s[40:41]
	s_mul_hi_u32 s31, s35, s38
	s_mul_hi_u32 s42, s35, s39
	s_add_co_u32 s2, s40, s33
	s_wait_alu 0xfffe
	s_add_co_ci_u32 s2, s41, s31
	s_mul_i32 s38, s35, s39
	s_add_co_ci_u32 s39, s42, 0
	s_wait_alu 0xfffe
	s_add_nc_u64 s[38:39], s[2:3], s[38:39]
	s_wait_alu 0xfffe
	v_add_co_u32 v4, s2, s34, s38
	s_delay_alu instid0(VALU_DEP_1) | instskip(SKIP_1) | instid1(VALU_DEP_1)
	s_cmp_lg_u32 s2, 0
	s_add_co_ci_u32 s35, s35, s39
	v_readfirstlane_b32 s34, v4
	s_wait_alu 0xfffe
	s_delay_alu instid0(VALU_DEP_1)
	s_mul_u64 s[36:37], s[36:37], s[34:35]
	s_wait_alu 0xfffe
	s_mul_hi_u32 s39, s34, s37
	s_mul_i32 s38, s34, s37
	s_mul_hi_u32 s2, s34, s36
	s_mul_i32 s33, s35, s36
	s_wait_alu 0xfffe
	s_add_nc_u64 s[38:39], s[2:3], s[38:39]
	s_mul_hi_u32 s31, s35, s36
	s_mul_hi_u32 s34, s35, s37
	s_wait_alu 0xfffe
	s_add_co_u32 s2, s38, s33
	s_add_co_ci_u32 s2, s39, s31
	s_mul_i32 s36, s35, s37
	s_add_co_ci_u32 s37, s34, 0
	s_wait_alu 0xfffe
	s_add_nc_u64 s[36:37], s[2:3], s[36:37]
	s_wait_alu 0xfffe
	v_add_co_u32 v4, s2, v4, s36
	s_delay_alu instid0(VALU_DEP_1) | instskip(SKIP_1) | instid1(VALU_DEP_1)
	s_cmp_lg_u32 s2, 0
	s_add_co_ci_u32 s2, s35, s37
	v_mul_hi_u32 v13, v5, v4
	s_wait_alu 0xfffe
	v_mad_co_u64_u32 v[7:8], null, v5, s2, 0
	v_mad_co_u64_u32 v[9:10], null, v6, v4, 0
	;; [unrolled: 1-line block ×3, first 2 shown]
	s_delay_alu instid0(VALU_DEP_3) | instskip(SKIP_1) | instid1(VALU_DEP_4)
	v_add_co_u32 v4, vcc_lo, v13, v7
	s_wait_alu 0xfffd
	v_add_co_ci_u32_e32 v7, vcc_lo, 0, v8, vcc_lo
	s_delay_alu instid0(VALU_DEP_2) | instskip(SKIP_1) | instid1(VALU_DEP_2)
	v_add_co_u32 v4, vcc_lo, v4, v9
	s_wait_alu 0xfffd
	v_add_co_ci_u32_e32 v4, vcc_lo, v7, v10, vcc_lo
	s_wait_alu 0xfffd
	v_add_co_ci_u32_e32 v7, vcc_lo, 0, v12, vcc_lo
	s_delay_alu instid0(VALU_DEP_2) | instskip(SKIP_1) | instid1(VALU_DEP_2)
	v_add_co_u32 v4, vcc_lo, v4, v11
	s_wait_alu 0xfffd
	v_add_co_ci_u32_e32 v9, vcc_lo, 0, v7, vcc_lo
	s_delay_alu instid0(VALU_DEP_2) | instskip(SKIP_1) | instid1(VALU_DEP_3)
	v_mul_lo_u32 v10, s29, v4
	v_mad_co_u64_u32 v[7:8], null, s28, v4, 0
	v_mul_lo_u32 v11, s28, v9
	s_delay_alu instid0(VALU_DEP_2) | instskip(NEXT) | instid1(VALU_DEP_2)
	v_sub_co_u32 v7, vcc_lo, v5, v7
	v_add3_u32 v8, v8, v11, v10
	s_delay_alu instid0(VALU_DEP_1) | instskip(SKIP_1) | instid1(VALU_DEP_1)
	v_sub_nc_u32_e32 v10, v6, v8
	s_wait_alu 0xfffd
	v_subrev_co_ci_u32_e64 v10, s2, s29, v10, vcc_lo
	v_add_co_u32 v11, s2, v4, 2
	s_wait_alu 0xf1ff
	v_add_co_ci_u32_e64 v12, s2, 0, v9, s2
	v_sub_co_u32 v13, s2, v7, s28
	v_sub_co_ci_u32_e32 v8, vcc_lo, v6, v8, vcc_lo
	s_wait_alu 0xf1ff
	v_subrev_co_ci_u32_e64 v10, s2, 0, v10, s2
	s_delay_alu instid0(VALU_DEP_3) | instskip(NEXT) | instid1(VALU_DEP_3)
	v_cmp_le_u32_e32 vcc_lo, s28, v13
	v_cmp_eq_u32_e64 s2, s29, v8
	s_wait_alu 0xfffd
	v_cndmask_b32_e64 v13, 0, -1, vcc_lo
	v_cmp_le_u32_e32 vcc_lo, s29, v10
	s_wait_alu 0xfffd
	v_cndmask_b32_e64 v14, 0, -1, vcc_lo
	v_cmp_le_u32_e32 vcc_lo, s28, v7
	;; [unrolled: 3-line block ×3, first 2 shown]
	s_wait_alu 0xfffd
	v_cndmask_b32_e64 v15, 0, -1, vcc_lo
	v_cmp_eq_u32_e32 vcc_lo, s29, v10
	s_wait_alu 0xf1ff
	s_delay_alu instid0(VALU_DEP_2)
	v_cndmask_b32_e64 v7, v15, v7, s2
	s_wait_alu 0xfffd
	v_cndmask_b32_e32 v10, v14, v13, vcc_lo
	v_add_co_u32 v13, vcc_lo, v4, 1
	s_wait_alu 0xfffd
	v_add_co_ci_u32_e32 v14, vcc_lo, 0, v9, vcc_lo
	s_delay_alu instid0(VALU_DEP_3) | instskip(SKIP_1) | instid1(VALU_DEP_2)
	v_cmp_ne_u32_e32 vcc_lo, 0, v10
	s_wait_alu 0xfffd
	v_cndmask_b32_e32 v8, v14, v12, vcc_lo
	v_cndmask_b32_e32 v10, v13, v11, vcc_lo
	v_cmp_ne_u32_e32 vcc_lo, 0, v7
	s_wait_alu 0xfffd
	s_delay_alu instid0(VALU_DEP_2)
	v_dual_cndmask_b32 v89, v9, v8 :: v_dual_cndmask_b32 v88, v4, v10
.LBB0_4:                                ;   in Loop: Header=BB0_2 Depth=1
	s_wait_alu 0xfffe
	s_and_not1_saveexec_b32 s2, s30
	s_cbranch_execz .LBB0_6
; %bb.5:                                ;   in Loop: Header=BB0_2 Depth=1
	v_cvt_f32_u32_e32 v4, s28
	s_sub_co_i32 s30, 0, s28
	v_mov_b32_e32 v89, v3
	s_delay_alu instid0(VALU_DEP_2) | instskip(NEXT) | instid1(TRANS32_DEP_1)
	v_rcp_iflag_f32_e32 v4, v4
	v_mul_f32_e32 v4, 0x4f7ffffe, v4
	s_delay_alu instid0(VALU_DEP_1) | instskip(SKIP_1) | instid1(VALU_DEP_1)
	v_cvt_u32_f32_e32 v4, v4
	s_wait_alu 0xfffe
	v_mul_lo_u32 v7, s30, v4
	s_delay_alu instid0(VALU_DEP_1) | instskip(NEXT) | instid1(VALU_DEP_1)
	v_mul_hi_u32 v7, v4, v7
	v_add_nc_u32_e32 v4, v4, v7
	s_delay_alu instid0(VALU_DEP_1) | instskip(NEXT) | instid1(VALU_DEP_1)
	v_mul_hi_u32 v4, v5, v4
	v_mul_lo_u32 v7, v4, s28
	v_add_nc_u32_e32 v8, 1, v4
	s_delay_alu instid0(VALU_DEP_2) | instskip(NEXT) | instid1(VALU_DEP_1)
	v_sub_nc_u32_e32 v7, v5, v7
	v_subrev_nc_u32_e32 v9, s28, v7
	v_cmp_le_u32_e32 vcc_lo, s28, v7
	s_wait_alu 0xfffd
	s_delay_alu instid0(VALU_DEP_2) | instskip(NEXT) | instid1(VALU_DEP_1)
	v_dual_cndmask_b32 v7, v7, v9 :: v_dual_cndmask_b32 v4, v4, v8
	v_cmp_le_u32_e32 vcc_lo, s28, v7
	s_delay_alu instid0(VALU_DEP_2) | instskip(SKIP_1) | instid1(VALU_DEP_1)
	v_add_nc_u32_e32 v8, 1, v4
	s_wait_alu 0xfffd
	v_cndmask_b32_e32 v88, v4, v8, vcc_lo
.LBB0_6:                                ;   in Loop: Header=BB0_2 Depth=1
	s_wait_alu 0xfffe
	s_or_b32 exec_lo, exec_lo, s2
	v_mul_lo_u32 v4, v89, s28
	s_delay_alu instid0(VALU_DEP_2)
	v_mul_lo_u32 v9, v88, s29
	s_load_b64 s[30:31], s[22:23], 0x0
	v_mad_co_u64_u32 v[7:8], null, v88, s28, 0
	s_load_b64 s[28:29], s[20:21], 0x0
	s_add_nc_u64 s[24:25], s[24:25], 1
	s_add_nc_u64 s[20:21], s[20:21], 8
	s_wait_alu 0xfffe
	v_cmp_ge_u64_e64 s2, s[24:25], s[14:15]
	s_add_nc_u64 s[22:23], s[22:23], 8
	s_add_nc_u64 s[26:27], s[26:27], 8
	v_add3_u32 v4, v8, v9, v4
	v_sub_co_u32 v5, vcc_lo, v5, v7
	s_wait_alu 0xfffd
	s_delay_alu instid0(VALU_DEP_2) | instskip(SKIP_2) | instid1(VALU_DEP_1)
	v_sub_co_ci_u32_e32 v4, vcc_lo, v6, v4, vcc_lo
	s_and_b32 vcc_lo, exec_lo, s2
	s_wait_kmcnt 0x0
	v_mul_lo_u32 v6, s30, v4
	v_mul_lo_u32 v7, s31, v5
	v_mad_co_u64_u32 v[1:2], null, s30, v5, v[1:2]
	v_mul_lo_u32 v4, s28, v4
	v_mul_lo_u32 v8, s29, v5
	v_mad_co_u64_u32 v[86:87], null, s28, v5, v[86:87]
	s_delay_alu instid0(VALU_DEP_4) | instskip(NEXT) | instid1(VALU_DEP_2)
	v_add3_u32 v2, v7, v2, v6
	v_add3_u32 v87, v8, v87, v4
	s_wait_alu 0xfffe
	s_cbranch_vccnz .LBB0_9
; %bb.7:                                ;   in Loop: Header=BB0_2 Depth=1
	v_dual_mov_b32 v5, v88 :: v_dual_mov_b32 v6, v89
	s_branch .LBB0_2
.LBB0_8:
	v_dual_mov_b32 v87, v2 :: v_dual_mov_b32 v86, v1
	s_delay_alu instid0(VALU_DEP_2)
	v_dual_mov_b32 v89, v6 :: v_dual_mov_b32 v88, v5
.LBB0_9:
	s_load_b64 s[0:1], s[0:1], 0x28
	v_mul_hi_u32 v3, 0x28f5c29, v0
	s_lshl_b64 s[14:15], s[14:15], 3
                                        ; implicit-def: $vgpr128
	s_wait_alu 0xfffe
	s_add_nc_u64 s[2:3], s[10:11], s[14:15]
	s_wait_kmcnt 0x0
	v_cmp_gt_u64_e32 vcc_lo, s[0:1], v[88:89]
	v_cmp_le_u64_e64 s0, s[0:1], v[88:89]
	s_delay_alu instid0(VALU_DEP_1)
	s_and_saveexec_b32 s1, s0
	s_wait_alu 0xfffe
	s_xor_b32 s0, exec_lo, s1
; %bb.10:
	v_mul_u32_u24_e32 v1, 0x64, v3
                                        ; implicit-def: $vgpr3
	s_delay_alu instid0(VALU_DEP_1)
	v_sub_nc_u32_e32 v128, v0, v1
                                        ; implicit-def: $vgpr0
                                        ; implicit-def: $vgpr1_vgpr2
; %bb.11:
	s_wait_alu 0xfffe
	s_or_saveexec_b32 s1, s0
	s_load_b64 s[2:3], s[2:3], 0x0
                                        ; implicit-def: $vgpr8_vgpr9
                                        ; implicit-def: $vgpr16_vgpr17
                                        ; implicit-def: $vgpr20_vgpr21
                                        ; implicit-def: $vgpr48_vgpr49
                                        ; implicit-def: $vgpr52_vgpr53
                                        ; implicit-def: $vgpr32_vgpr33
                                        ; implicit-def: $vgpr24_vgpr25
                                        ; implicit-def: $vgpr44_vgpr45
                                        ; implicit-def: $vgpr36_vgpr37
                                        ; implicit-def: $vgpr60_vgpr61
                                        ; implicit-def: $vgpr56_vgpr57
                                        ; implicit-def: $vgpr80_vgpr81
                                        ; implicit-def: $vgpr84_vgpr85
                                        ; implicit-def: $vgpr76_vgpr77
                                        ; implicit-def: $vgpr72_vgpr73
                                        ; implicit-def: $vgpr68_vgpr69
                                        ; implicit-def: $vgpr64_vgpr65
                                        ; implicit-def: $vgpr28_vgpr29
                                        ; implicit-def: $vgpr40_vgpr41
                                        ; implicit-def: $vgpr12_vgpr13
	s_xor_b32 exec_lo, exec_lo, s1
	s_cbranch_execz .LBB0_15
; %bb.12:
	s_add_nc_u64 s[8:9], s[8:9], s[14:15]
	v_mul_u32_u24_e32 v3, 0x64, v3
	s_load_b64 s[8:9], s[8:9], 0x0
	v_lshlrev_b64_e32 v[1:2], 4, v[1:2]
                                        ; implicit-def: $vgpr62_vgpr63
                                        ; implicit-def: $vgpr66_vgpr67
                                        ; implicit-def: $vgpr70_vgpr71
                                        ; implicit-def: $vgpr74_vgpr75
                                        ; implicit-def: $vgpr82_vgpr83
                                        ; implicit-def: $vgpr78_vgpr79
                                        ; implicit-def: $vgpr54_vgpr55
                                        ; implicit-def: $vgpr58_vgpr59
                                        ; implicit-def: $vgpr42_vgpr43
	s_delay_alu instid0(VALU_DEP_2) | instskip(NEXT) | instid1(VALU_DEP_1)
	v_sub_nc_u32_e32 v128, v0, v3
	v_mad_co_u64_u32 v[3:4], null, s18, v128, 0
	v_add_nc_u32_e32 v13, 0xa0, v128
	v_add_nc_u32_e32 v16, 0x140, v128
	v_or_b32_e32 v19, 0x280, v128
	v_add_nc_u32_e32 v30, 0x3c0, v128
	v_or_b32_e32 v33, 0x500, v128
	v_dual_mov_b32 v0, v4 :: v_dual_add_nc_u32 v31, 0x460, v128
	v_mad_co_u64_u32 v[5:6], null, s18, v13, 0
	s_wait_kmcnt 0x0
	v_mul_lo_u32 v4, s9, v88
	v_mul_lo_u32 v18, s8, v89
	v_mad_co_u64_u32 v[9:10], null, s8, v88, 0
	v_add_nc_u32_e32 v17, 0x1e0, v128
	v_mad_co_u64_u32 v[7:8], null, s18, v16, 0
	v_mad_co_u64_u32 v[11:12], null, s19, v128, v[0:1]
	v_mov_b32_e32 v0, v6
	s_delay_alu instid0(VALU_DEP_4) | instskip(SKIP_2) | instid1(VALU_DEP_4)
	v_mad_co_u64_u32 v[14:15], null, s18, v17, 0
	v_add3_u32 v10, v10, v18, v4
	v_mov_b32_e32 v6, v8
	v_mad_co_u64_u32 v[12:13], null, s19, v13, v[0:1]
	v_mov_b32_e32 v4, v11
	s_delay_alu instid0(VALU_DEP_4) | instskip(SKIP_2) | instid1(VALU_DEP_4)
	v_lshlrev_b64_e32 v[9:10], 4, v[9:10]
	v_mov_b32_e32 v8, v15
	v_mad_co_u64_u32 v[15:16], null, s19, v16, v[6:7]
	v_lshlrev_b64_e32 v[3:4], 4, v[3:4]
	v_mov_b32_e32 v6, v12
	v_add_co_u32 v0, s0, s4, v9
	v_mad_co_u64_u32 v[16:17], null, s19, v17, v[8:9]
	s_wait_alu 0xf1ff
	v_add_co_ci_u32_e64 v9, s0, s5, v10, s0
	s_delay_alu instid0(VALU_DEP_3) | instskip(SKIP_2) | instid1(VALU_DEP_3)
	v_add_co_u32 v0, s0, v0, v1
	v_lshlrev_b64_e32 v[5:6], 4, v[5:6]
	s_wait_alu 0xf1ff
	v_add_co_ci_u32_e64 v1, s0, v9, v2, s0
	s_delay_alu instid0(VALU_DEP_3) | instskip(SKIP_2) | instid1(VALU_DEP_3)
	v_add_co_u32 v2, s0, v0, v3
	v_mov_b32_e32 v8, v15
	s_wait_alu 0xf1ff
	v_add_co_ci_u32_e64 v3, s0, v1, v4, s0
	v_add_co_u32 v4, s0, v0, v5
	s_wait_alu 0xf1ff
	v_add_co_ci_u32_e64 v5, s0, v1, v6, s0
	v_lshlrev_b64_e32 v[17:18], 4, v[7:8]
	s_clause 0x1
	global_load_b128 v[10:13], v[2:3], off
	global_load_b128 v[6:9], v[4:5], off
	v_mad_co_u64_u32 v[22:23], null, s18, v19, 0
	v_dual_mov_b32 v15, v16 :: v_dual_add_nc_u32 v16, 0x320, v128
	v_add_co_u32 v2, s0, v0, v17
	v_mad_co_u64_u32 v[26:27], null, s18, v30, 0
	s_delay_alu instid0(VALU_DEP_3)
	v_mad_co_u64_u32 v[24:25], null, s18, v16, 0
	v_mov_b32_e32 v4, v23
	v_lshlrev_b64_e32 v[14:15], 4, v[14:15]
	s_wait_alu 0xf1ff
	v_add_co_ci_u32_e64 v3, s0, v1, v18, s0
	s_mov_b32 s4, exec_lo
	v_mad_co_u64_u32 v[4:5], null, s19, v19, v[4:5]
	v_mov_b32_e32 v5, v25
	v_add_co_u32 v18, s0, v0, v14
	s_wait_alu 0xf1ff
	v_add_co_ci_u32_e64 v19, s0, v1, v15, s0
	s_delay_alu instid0(VALU_DEP_4) | instskip(NEXT) | instid1(VALU_DEP_1)
	v_mov_b32_e32 v23, v4
	v_lshlrev_b64_e32 v[22:23], 4, v[22:23]
	s_delay_alu instid0(VALU_DEP_1) | instskip(SKIP_1) | instid1(VALU_DEP_2)
	v_add_co_u32 v22, s0, v0, v22
	s_wait_alu 0xf1ff
	v_add_co_ci_u32_e64 v23, s0, v1, v23, s0
	s_wait_loadcnt 0x0
	v_mad_co_u64_u32 v[28:29], null, s19, v16, v[5:6]
	v_mad_co_u64_u32 v[4:5], null, s18, v31, 0
	s_clause 0x1
	global_load_b128 v[14:17], v[2:3], off
	global_load_b128 v[18:21], v[18:19], off
	v_dual_mov_b32 v2, v27 :: v_dual_mov_b32 v25, v28
	v_mad_co_u64_u32 v[28:29], null, s18, v33, 0
	s_delay_alu instid0(VALU_DEP_2) | instskip(SKIP_1) | instid1(VALU_DEP_4)
	v_mad_co_u64_u32 v[2:3], null, s19, v30, v[2:3]
	v_mov_b32_e32 v3, v5
	v_lshlrev_b64_e32 v[24:25], 4, v[24:25]
	s_delay_alu instid0(VALU_DEP_2) | instskip(SKIP_2) | instid1(VALU_DEP_4)
	v_mad_co_u64_u32 v[30:31], null, s19, v31, v[3:4]
	v_mov_b32_e32 v3, v29
	v_mov_b32_e32 v27, v2
	v_add_co_u32 v24, s0, v0, v24
	s_wait_alu 0xf1ff
	v_add_co_ci_u32_e64 v25, s0, v1, v25, s0
	v_mov_b32_e32 v5, v30
	v_mad_co_u64_u32 v[2:3], null, s19, v33, v[3:4]
	v_add_nc_u32_e32 v34, 0x5a0, v128
	v_lshlrev_b64_e32 v[26:27], 4, v[26:27]
	s_delay_alu instid0(VALU_DEP_3) | instskip(NEXT) | instid1(VALU_DEP_3)
	v_mov_b32_e32 v29, v2
	v_mad_co_u64_u32 v[31:32], null, s18, v34, 0
	s_delay_alu instid0(VALU_DEP_3) | instskip(SKIP_1) | instid1(VALU_DEP_4)
	v_add_co_u32 v26, s0, v0, v26
	s_wait_alu 0xf1ff
	v_add_co_ci_u32_e64 v27, s0, v1, v27, s0
	v_lshlrev_b64_e32 v[28:29], 4, v[28:29]
	s_delay_alu instid0(VALU_DEP_4) | instskip(NEXT) | instid1(VALU_DEP_1)
	v_mov_b32_e32 v3, v32
	v_mad_co_u64_u32 v[32:33], null, s19, v34, v[3:4]
	v_lshlrev_b64_e32 v[3:4], 4, v[4:5]
                                        ; implicit-def: $vgpr34_vgpr35
	s_delay_alu instid0(VALU_DEP_1) | instskip(SKIP_1) | instid1(VALU_DEP_2)
	v_add_co_u32 v2, s0, v0, v3
	s_wait_alu 0xf1ff
	v_add_co_ci_u32_e64 v3, s0, v1, v4, s0
	s_delay_alu instid0(VALU_DEP_4) | instskip(SKIP_3) | instid1(VALU_DEP_3)
	v_lshlrev_b64_e32 v[4:5], 4, v[31:32]
	v_add_co_u32 v28, s0, v0, v28
	s_wait_alu 0xf1ff
	v_add_co_ci_u32_e64 v29, s0, v1, v29, s0
	v_add_co_u32 v4, s0, v0, v4
	s_wait_alu 0xf1ff
	v_add_co_ci_u32_e64 v5, s0, v1, v5, s0
	s_clause 0x5
	global_load_b128 v[46:49], v[22:23], off
	global_load_b128 v[50:53], v[24:25], off
	;; [unrolled: 1-line block ×6, first 2 shown]
	v_cmpx_gt_u32_e32 60, v128
	s_cbranch_execz .LBB0_14
; %bb.13:
	v_add_nc_u32_e32 v42, 0x104, v128
	v_add_nc_u32_e32 v71, 0x4c4, v128
	v_add_nc_u32_e32 v73, 0x564, v128
	v_add_nc_u32_e32 v70, 0x424, v128
	v_add_nc_u32_e32 v74, 0x604, v128
	v_mad_co_u64_u32 v[4:5], null, s18, v42, 0
	s_delay_alu instid0(VALU_DEP_3) | instskip(SKIP_1) | instid1(VALU_DEP_3)
	v_mad_co_u64_u32 v[66:67], null, s18, v70, 0
	v_add_nc_u32_e32 v59, 0x384, v128
	v_mad_co_u64_u32 v[42:43], null, s19, v42, v[5:6]
	v_add_nc_u32_e32 v58, 0x2e4, v128
	s_delay_alu instid0(VALU_DEP_3) | instskip(NEXT) | instid1(VALU_DEP_3)
	v_mad_co_u64_u32 v[64:65], null, s18, v59, 0
	v_mov_b32_e32 v5, v42
	s_delay_alu instid0(VALU_DEP_3) | instskip(SKIP_1) | instid1(VALU_DEP_1)
	v_mad_co_u64_u32 v[62:63], null, s18, v58, 0
	v_add_nc_u32_e32 v45, 0x244, v128
	v_mad_co_u64_u32 v[54:55], null, s18, v45, 0
	v_add_nc_u32_e32 v44, 0x1a4, v128
	s_delay_alu instid0(VALU_DEP_1) | instskip(SKIP_1) | instid1(VALU_DEP_1)
	v_mad_co_u64_u32 v[34:35], null, s18, v44, 0
	v_add_nc_u32_e32 v36, 0x64, v128
	v_mad_co_u64_u32 v[2:3], null, s18, v36, 0
	s_delay_alu instid0(VALU_DEP_1) | instskip(NEXT) | instid1(VALU_DEP_4)
	v_mad_co_u64_u32 v[36:37], null, s19, v36, v[3:4]
	v_mov_b32_e32 v3, v35
	v_mov_b32_e32 v35, v55
	s_delay_alu instid0(VALU_DEP_2) | instskip(NEXT) | instid1(VALU_DEP_4)
	v_mad_co_u64_u32 v[43:44], null, s19, v44, v[3:4]
	v_mov_b32_e32 v3, v36
	s_delay_alu instid0(VALU_DEP_3) | instskip(SKIP_1) | instid1(VALU_DEP_3)
	v_mad_co_u64_u32 v[55:56], null, s19, v45, v[35:36]
	v_lshlrev_b64_e32 v[4:5], 4, v[4:5]
	v_lshlrev_b64_e32 v[2:3], 4, v[2:3]
	v_mov_b32_e32 v35, v43
	s_delay_alu instid0(VALU_DEP_4) | instskip(NEXT) | instid1(VALU_DEP_3)
	v_lshlrev_b64_e32 v[54:55], 4, v[54:55]
	v_add_co_u32 v2, s0, v0, v2
	s_wait_alu 0xf1ff
	s_delay_alu instid0(VALU_DEP_4)
	v_add_co_ci_u32_e64 v3, s0, v1, v3, s0
	v_add_co_u32 v4, s0, v0, v4
	s_wait_alu 0xf1ff
	v_add_co_ci_u32_e64 v5, s0, v1, v5, s0
	v_lshlrev_b64_e32 v[56:57], 4, v[34:35]
	s_clause 0x1
	global_load_b128 v[42:45], v[2:3], off
	global_load_b128 v[34:37], v[4:5], off
	v_mov_b32_e32 v4, v63
	v_add_co_u32 v2, s0, v0, v56
	s_delay_alu instid0(VALU_DEP_2)
	v_mad_co_u64_u32 v[4:5], null, s19, v58, v[4:5]
	v_mov_b32_e32 v5, v65
	s_wait_alu 0xf1ff
	v_add_co_ci_u32_e64 v3, s0, v1, v57, s0
	v_add_co_u32 v54, s0, v0, v54
	s_wait_alu 0xf1ff
	v_add_co_ci_u32_e64 v55, s0, v1, v55, s0
	v_mad_co_u64_u32 v[68:69], null, s19, v59, v[5:6]
	v_mov_b32_e32 v63, v4
	v_mad_co_u64_u32 v[4:5], null, s18, v71, 0
	s_clause 0x1
	global_load_b128 v[58:61], v[2:3], off
	global_load_b128 v[54:57], v[54:55], off
	v_mov_b32_e32 v2, v67
	v_lshlrev_b64_e32 v[62:63], 4, v[62:63]
	v_mov_b32_e32 v65, v68
	v_mad_co_u64_u32 v[68:69], null, s18, v73, 0
	s_delay_alu instid0(VALU_DEP_4) | instskip(SKIP_1) | instid1(VALU_DEP_4)
	v_mad_co_u64_u32 v[2:3], null, s19, v70, v[2:3]
	v_mov_b32_e32 v3, v5
	v_lshlrev_b64_e32 v[64:65], 4, v[64:65]
	v_add_co_u32 v62, s0, v0, v62
	s_wait_alu 0xf1ff
	v_add_co_ci_u32_e64 v63, s0, v1, v63, s0
	v_mad_co_u64_u32 v[70:71], null, s19, v71, v[3:4]
	v_mad_co_u64_u32 v[71:72], null, s18, v74, 0
	v_mov_b32_e32 v3, v69
	v_mov_b32_e32 v67, v2
	v_add_co_u32 v64, s0, v0, v64
	v_mov_b32_e32 v5, v70
	s_delay_alu instid0(VALU_DEP_4) | instskip(SKIP_4) | instid1(VALU_DEP_3)
	v_mad_co_u64_u32 v[2:3], null, s19, v73, v[3:4]
	v_mov_b32_e32 v3, v72
	v_lshlrev_b64_e32 v[66:67], 4, v[66:67]
	s_wait_alu 0xf1ff
	v_add_co_ci_u32_e64 v65, s0, v1, v65, s0
	v_mad_co_u64_u32 v[72:73], null, s19, v74, v[3:4]
	v_lshlrev_b64_e32 v[3:4], 4, v[4:5]
	v_mov_b32_e32 v69, v2
	v_add_co_u32 v66, s0, v0, v66
	s_wait_alu 0xf1ff
	v_add_co_ci_u32_e64 v67, s0, v1, v67, s0
	s_delay_alu instid0(VALU_DEP_3) | instskip(SKIP_4) | instid1(VALU_DEP_4)
	v_lshlrev_b64_e32 v[68:69], 4, v[68:69]
	v_add_co_u32 v2, s0, v0, v3
	s_wait_alu 0xf1ff
	v_add_co_ci_u32_e64 v3, s0, v1, v4, s0
	v_lshlrev_b64_e32 v[4:5], 4, v[71:72]
	v_add_co_u32 v74, s0, v0, v68
	s_wait_alu 0xf1ff
	v_add_co_ci_u32_e64 v75, s0, v1, v69, s0
	s_delay_alu instid0(VALU_DEP_3)
	v_add_co_u32 v0, s0, v0, v4
	s_wait_alu 0xf1ff
	v_add_co_ci_u32_e64 v1, s0, v1, v5, s0
	s_clause 0x5
	global_load_b128 v[78:81], v[62:63], off
	global_load_b128 v[62:65], v[64:65], off
	;; [unrolled: 1-line block ×6, first 2 shown]
.LBB0_14:
	s_wait_alu 0xfffe
	s_or_b32 exec_lo, exec_lo, s4
.LBB0_15:
	s_delay_alu instid0(SALU_CYCLE_1)
	s_or_b32 exec_lo, exec_lo, s1
	s_wait_loadcnt 0x2
	v_add_f64_e32 v[0:1], v[52:53], v[32:33]
	s_wait_loadcnt 0x0
	v_add_f64_e32 v[2:3], v[20:21], v[28:29]
	v_add_f64_e32 v[4:5], v[72:73], v[64:65]
	;; [unrolled: 1-line block ×5, first 2 shown]
	v_add_f64_e64 v[96:97], v[18:19], -v[26:27]
	v_add_f64_e64 v[98:99], v[50:51], -v[30:31]
	v_add_f64_e32 v[100:101], v[70:71], v[62:63]
	v_add_f64_e32 v[102:103], v[54:55], v[82:83]
	v_add_f64_e64 v[104:105], v[54:55], -v[82:83]
	v_add_f64_e64 v[106:107], v[62:63], -v[70:71]
	s_mov_b32 s10, 0x134454ff
	s_mov_b32 s11, 0xbfee6f0e
	;; [unrolled: 1-line block ×4, first 2 shown]
	v_add_f64_e64 v[118:119], v[20:21], -v[52:53]
	v_add_f64_e64 v[120:121], v[28:29], -v[32:33]
	;; [unrolled: 1-line block ×4, first 2 shown]
	v_add_f64_e32 v[126:127], v[46:47], v[38:39]
	v_add_f64_e32 v[130:131], v[14:15], v[22:23]
	v_add_f64_e64 v[132:133], v[20:21], -v[28:29]
	v_add_f64_e64 v[134:135], v[52:53], -v[32:33]
	v_add_f64_e64 v[136:137], v[56:57], -v[64:65]
	v_add_f64_e64 v[138:139], v[84:85], -v[72:73]
	v_add_f64_e32 v[140:141], v[78:79], v[66:67]
	v_add_f64_e64 v[142:143], v[64:65], -v[56:57]
	v_add_f64_e32 v[144:145], v[58:59], v[74:75]
	v_add_f64_e64 v[146:147], v[72:73], -v[84:85]
	v_add_f64_e64 v[148:149], v[56:57], -v[84:85]
	;; [unrolled: 1-line block ×3, first 2 shown]
	s_mov_b32 s14, 0x4755a5e
	s_mov_b32 s15, 0xbfe2cf23
	;; [unrolled: 1-line block ×3, first 2 shown]
	s_wait_alu 0xfffe
	s_mov_b32 s8, s14
	v_add_f64_e64 v[108:109], v[18:19], -v[50:51]
	v_add_f64_e64 v[114:115], v[26:27], -v[30:31]
	v_fma_f64 v[0:1], v[0:1], -0.5, v[8:9]
	v_fma_f64 v[2:3], v[2:3], -0.5, v[8:9]
	;; [unrolled: 1-line block ×6, first 2 shown]
	v_add_f64_e64 v[116:117], v[50:51], -v[18:19]
	v_add_f64_e64 v[156:157], v[30:31], -v[26:27]
	v_fma_f64 v[100:101], v[100:101], -0.5, v[34:35]
	v_fma_f64 v[102:103], v[102:103], -0.5, v[34:35]
	v_add_f64_e64 v[162:163], v[16:17], -v[24:25]
	v_add_f64_e64 v[164:165], v[48:49], -v[40:41]
	v_add_f64_e32 v[166:167], v[14:15], v[10:11]
	v_add_f64_e32 v[6:7], v[6:7], v[18:19]
	v_add_f64_e64 v[18:19], v[54:55], -v[62:63]
	v_add_f64_e64 v[168:169], v[82:83], -v[70:71]
	;; [unrolled: 1-line block ×6, first 2 shown]
	v_fma_f64 v[126:127], v[126:127], -0.5, v[10:11]
	v_add_f64_e32 v[118:119], v[118:119], v[120:121]
	v_fma_f64 v[10:11], v[130:131], -0.5, v[10:11]
	v_add_f64_e32 v[120:121], v[122:123], v[124:125]
	s_mov_b32 s18, 0x372fe950
	v_add_f64_e32 v[124:125], v[138:139], v[136:137]
	v_fma_f64 v[122:123], v[140:141], -0.5, v[42:43]
	s_mov_b32 s19, 0x3fd3c6ef
	v_fma_f64 v[130:131], v[144:145], -0.5, v[42:43]
	v_add_f64_e32 v[136:137], v[146:147], v[142:143]
	v_add_f64_e64 v[110:111], v[14:15], -v[46:47]
	v_add_f64_e64 v[112:113], v[22:23], -v[38:39]
	;; [unrolled: 1-line block ×4, first 2 shown]
	s_mov_b32 s20, 0x9b97f4a8
	s_mov_b32 s21, 0x3fe9e377
	;; [unrolled: 1-line block ×3, first 2 shown]
	v_add_f64_e32 v[114:115], v[108:109], v[114:115]
	v_fma_f64 v[150:151], v[96:97], s[4:5], v[0:1]
	v_fma_f64 v[152:153], v[98:99], s[10:11], v[2:3]
	;; [unrolled: 1-line block ×14, first 2 shown]
	v_add_f64_e32 v[116:117], v[116:117], v[156:157]
	v_add_f64_e32 v[156:157], v[46:47], v[166:167]
	;; [unrolled: 1-line block ×5, first 2 shown]
	s_mov_b32 s23, 0xbfe9e377
	v_fma_f64 v[170:171], v[162:163], s[10:11], v[126:127]
	v_fma_f64 v[126:127], v[162:163], s[4:5], v[126:127]
	;; [unrolled: 1-line block ×4, first 2 shown]
	s_wait_alu 0xfffe
	s_mov_b32 s0, s18
	s_mov_b32 s22, s20
	v_fma_f64 v[184:185], v[174:175], s[10:11], v[122:123]
	v_fma_f64 v[122:123], v[174:175], s[4:5], v[122:123]
	;; [unrolled: 1-line block ×4, first 2 shown]
	v_and_b32_e32 v129, 1, v129
	v_fma_f64 v[142:143], v[98:99], s[8:9], v[150:151]
	v_fma_f64 v[146:147], v[96:97], s[8:9], v[152:153]
	v_fma_f64 v[2:3], v[96:97], s[14:15], v[2:3]
	v_fma_f64 v[0:1], v[98:99], s[14:15], v[0:1]
	v_fma_f64 v[98:99], v[154:155], s[4:5], v[102:103]
	v_fma_f64 v[102:103], v[154:155], s[10:11], v[102:103]
	v_fma_f64 v[150:151], v[106:107], s[8:9], v[158:159]
	v_fma_f64 v[152:153], v[104:105], s[8:9], v[160:161]
	v_fma_f64 v[90:91], v[104:105], s[14:15], v[90:91]
	v_fma_f64 v[4:5], v[106:107], s[14:15], v[4:5]
	v_add_f64_e64 v[104:105], v[46:47], -v[14:15]
	v_add_f64_e64 v[106:107], v[38:39], -v[22:23]
	;; [unrolled: 1-line block ×4, first 2 shown]
	v_fma_f64 v[138:139], v[134:135], s[14:15], v[138:139]
	v_fma_f64 v[134:135], v[134:135], s[8:9], v[92:93]
	;; [unrolled: 1-line block ×5, first 2 shown]
	v_add_f64_e32 v[6:7], v[6:7], v[30:31]
	v_fma_f64 v[126:127], v[164:165], s[8:9], v[126:127]
	v_fma_f64 v[122:123], v[176:177], s[8:9], v[122:123]
	;; [unrolled: 1-line block ×14, first 2 shown]
	v_add_f64_e32 v[4:5], v[110:111], v[112:113]
	v_add_f64_e32 v[118:119], v[104:105], v[106:107]
	;; [unrolled: 1-line block ×5, first 2 shown]
	v_fma_f64 v[144:145], v[164:165], s[14:15], v[170:171]
	v_fma_f64 v[146:147], v[162:163], s[14:15], v[172:173]
	;; [unrolled: 1-line block ×10, first 2 shown]
	v_add_f64_e32 v[6:7], v[6:7], v[26:27]
	v_mul_f64_e32 v[114:115], s[14:15], v[50:51]
	v_fma_f64 v[110:111], v[166:167], s[18:19], v[142:143]
	v_mul_f64_e32 v[116:117], s[10:11], v[10:11]
	v_mul_f64_e32 v[132:133], s[10:11], v[96:97]
	;; [unrolled: 1-line block ×3, first 2 shown]
	v_fma_f64 v[100:101], v[168:169], s[18:19], v[0:1]
	v_fma_f64 v[102:103], v[168:169], s[18:19], v[2:3]
	v_mul_f64_e32 v[0:1], s[14:15], v[18:19]
	v_mul_f64_e32 v[2:3], s[10:11], v[108:109]
	;; [unrolled: 1-line block ×4, first 2 shown]
	v_add_f64_e32 v[136:137], v[22:23], v[136:137]
	v_fma_f64 v[142:143], v[4:5], s[18:19], v[144:145]
	v_fma_f64 v[4:5], v[4:5], s[18:19], v[126:127]
	;; [unrolled: 1-line block ×7, first 2 shown]
	v_mul_u32_u24_e32 v130, 10, v128
	s_delay_alu instid0(VALU_DEP_1)
	v_lshl_add_u32 v130, v130, 3, 0
	v_fma_f64 v[146:147], v[104:105], s[20:21], v[114:115]
	v_fma_f64 v[114:115], v[124:125], s[18:19], v[152:153]
	;; [unrolled: 1-line block ×3, first 2 shown]
	s_wait_alu 0xfffe
	v_fma_f64 v[154:155], v[106:107], s[0:1], v[132:133]
	v_fma_f64 v[156:157], v[98:99], s[22:23], v[134:135]
	;; [unrolled: 1-line block ×6, first 2 shown]
	v_cmp_eq_u32_e64 s0, 1, v129
	v_add_f64_e32 v[132:133], v[6:7], v[136:137]
	v_add_f64_e64 v[138:139], v[136:137], -v[6:7]
	s_wait_alu 0xf1ff
	s_delay_alu instid0(VALU_DEP_3) | instskip(SKIP_1) | instid1(VALU_DEP_2)
	v_cndmask_b32_e64 v131, 0, 0x640, s0
	v_cmp_gt_u32_e64 s0, 60, v128
	v_lshl_add_u32 v129, v131, 3, v130
	v_add_f64_e32 v[134:135], v[146:147], v[142:143]
	v_add_f64_e64 v[140:141], v[142:143], -v[146:147]
	v_add_f64_e64 v[142:143], v[144:145], -v[150:151]
	v_add_f64_e32 v[144:145], v[144:145], v[150:151]
	v_add_f64_e32 v[136:137], v[156:157], v[4:5]
	v_add_f64_e64 v[150:151], v[4:5], -v[156:157]
	v_add_f64_e32 v[146:147], v[148:149], v[154:155]
	v_add_f64_e64 v[0:1], v[26:27], -v[118:119]
	v_add_f64_e64 v[2:3], v[114:115], -v[116:117]
	;; [unrolled: 1-line block ×5, first 2 shown]
	ds_store_b128 v129, v[132:135]
	ds_store_b128 v129, v[144:147] offset:16
	ds_store_b128 v129, v[136:139] offset:32
	;; [unrolled: 1-line block ×4, first 2 shown]
	s_and_saveexec_b32 s1, s0
	s_cbranch_execz .LBB0_17
; %bb.16:
	v_add_f64_e32 v[42:43], v[42:43], v[58:59]
	v_add_f64_e32 v[34:35], v[34:35], v[54:55]
	;; [unrolled: 1-line block ×8, first 2 shown]
	s_delay_alu instid0(VALU_DEP_2) | instskip(NEXT) | instid1(VALU_DEP_2)
	v_add_f64_e32 v[42:43], v[42:43], v[66:67]
	v_add_f64_e32 v[34:35], v[70:71], v[34:35]
	s_delay_alu instid0(VALU_DEP_2) | instskip(NEXT) | instid1(VALU_DEP_2)
	v_add_f64_e32 v[42:43], v[74:75], v[42:43]
	v_add_f64_e32 v[34:35], v[82:83], v[34:35]
	s_delay_alu instid0(VALU_DEP_1)
	v_add_f64_e32 v[132:133], v[42:43], v[34:35]
	v_add_f64_e64 v[122:123], v[42:43], -v[34:35]
	ds_store_b128 v129, v[132:135] offset:8000
	ds_store_b128 v129, v[124:127] offset:8016
	ds_store_b128 v129, v[120:123] offset:8032
	ds_store_b128 v129, v[0:3] offset:8048
	ds_store_b128 v129, v[4:7] offset:8064
.LBB0_17:
	s_wait_alu 0xfffe
	s_or_b32 exec_lo, exec_lo, s1
	v_add_f64_e32 v[26:27], v[48:49], v[40:41]
	v_add_f64_e32 v[34:35], v[16:17], v[24:25]
	;; [unrolled: 1-line block ×5, first 2 shown]
	v_add_f64_e64 v[14:15], v[14:15], -v[22:23]
	v_add_f64_e32 v[8:9], v[8:9], v[20:21]
	v_add_f64_e64 v[20:21], v[46:47], -v[38:39]
	v_add_f64_e64 v[46:47], v[16:17], -v[48:49]
	;; [unrolled: 1-line block ×4, first 2 shown]
	v_mul_f64_e32 v[50:51], s[20:21], v[50:51]
	v_mul_f64_e32 v[112:113], s[4:5], v[112:113]
	;; [unrolled: 1-line block ×6, first 2 shown]
	global_wb scope:SCOPE_SE
	s_wait_dscnt 0x0
	s_wait_kmcnt 0x0
	s_barrier_signal -1
	s_barrier_wait -1
	global_inv scope:SCOPE_SE
	v_fma_f64 v[22:23], v[26:27], -0.5, v[12:13]
	v_fma_f64 v[12:13], v[34:35], -0.5, v[12:13]
	v_add_f64_e64 v[26:27], v[58:59], -v[74:75]
	v_add_f64_e64 v[34:35], v[78:79], -v[66:67]
	v_fma_f64 v[38:39], v[42:43], -0.5, v[44:45]
	v_fma_f64 v[42:43], v[54:55], -0.5, v[44:45]
	v_add_f64_e64 v[54:55], v[24:25], -v[40:41]
	v_add_f64_e32 v[48:49], v[48:49], v[62:63]
	v_add_f64_e32 v[8:9], v[8:9], v[52:53]
	v_add_f64_e64 v[52:53], v[40:41], -v[24:25]
	v_add_f64_e64 v[66:67], v[60:61], -v[80:81]
	v_add_f64_e64 v[74:75], v[80:81], -v[60:61]
	v_add_f64_e64 v[78:79], v[68:69], -v[76:77]
	v_fma_f64 v[50:51], v[104:105], s[8:9], v[50:51]
	v_fma_f64 v[10:11], v[10:11], s[18:19], v[112:113]
	v_add_nc_u32_e32 v112, 0x64, v128
	v_fma_f64 v[58:59], v[14:15], s[4:5], v[22:23]
	v_fma_f64 v[62:63], v[20:21], s[10:11], v[12:13]
	;; [unrolled: 1-line block ×8, first 2 shown]
	v_add_f64_e32 v[46:47], v[46:47], v[54:55]
	v_add_f64_e32 v[40:41], v[40:41], v[48:49]
	;; [unrolled: 1-line block ×6, first 2 shown]
	v_fma_f64 v[66:67], v[18:19], s[20:21], v[110:111]
	v_fma_f64 v[32:33], v[20:21], s[8:9], v[58:59]
	;; [unrolled: 1-line block ×5, first 2 shown]
	v_mul_f64_e32 v[20:21], s[18:19], v[92:93]
	v_mul_f64_e32 v[22:23], s[20:21], v[90:91]
	v_fma_f64 v[62:63], v[34:35], s[8:9], v[82:83]
	v_fma_f64 v[70:71], v[26:27], s[8:9], v[114:115]
	;; [unrolled: 1-line block ×4, first 2 shown]
	v_fma_f64 v[82:83], v[106:107], s[4:5], -v[96:97]
	v_add_f64_e32 v[24:25], v[24:25], v[40:41]
	v_add_f64_e32 v[8:9], v[8:9], v[28:29]
	v_fma_f64 v[28:29], v[98:99], s[8:9], -v[94:95]
	v_fma_f64 v[58:59], v[100:101], s[4:5], v[108:109]
	v_lshlrev_b32_e32 v96, 3, v131
	v_fma_f64 v[32:33], v[46:47], s[18:19], v[32:33]
	v_fma_f64 v[40:41], v[16:17], s[18:19], v[48:49]
	;; [unrolled: 1-line block ×4, first 2 shown]
	v_fma_f64 v[42:43], v[102:103], s[4:5], -v[20:21]
	v_fma_f64 v[34:35], v[30:31], s[8:9], -v[22:23]
	v_fma_f64 v[78:79], v[52:53], s[18:19], v[62:63]
	v_fma_f64 v[74:75], v[54:55], s[18:19], v[70:71]
	;; [unrolled: 1-line block ×4, first 2 shown]
	v_mul_i32_i24_e32 v16, 0xffffffb8, v128
	v_lshlrev_b32_e32 v17, 3, v128
	v_add_f64_e32 v[97:98], v[8:9], v[24:25]
	v_add_f64_e64 v[103:104], v[24:25], -v[8:9]
	s_delay_alu instid0(VALU_DEP_4) | instskip(NEXT) | instid1(VALU_DEP_4)
	v_add3_u32 v113, v130, v16, v96
	v_add3_u32 v114, 0, v96, v17
	s_delay_alu instid0(VALU_DEP_2)
	v_add_nc_u32_e32 v92, 0x800, v113
	v_add_nc_u32_e32 v90, 0x1400, v113
	;; [unrolled: 1-line block ×4, first 2 shown]
	v_add_f64_e32 v[99:100], v[32:33], v[50:51]
	v_add_f64_e32 v[105:106], v[40:41], v[10:11]
	;; [unrolled: 1-line block ×4, first 2 shown]
	v_add_f64_e64 v[118:119], v[40:41], -v[10:11]
	v_add_f64_e64 v[120:121], v[12:13], -v[82:83]
	;; [unrolled: 1-line block ×8, first 2 shown]
	v_add_nc_u32_e32 v83, 0xc00, v113
	ds_load_2addr_b64 v[38:41], v113 offset0:100 offset1:200
	v_add_nc_u32_e32 v82, 0x2800, v113
	ds_load_b64 v[16:17], v114
	ds_load_b64 v[70:71], v113 offset:12000
	ds_load_2addr_b64 v[30:33], v92 offset0:44 offset1:144
	ds_load_2addr_b64 v[22:25], v83 offset0:116 offset1:216
	ds_load_2addr_b64 v[18:21], v90 offset0:60 offset1:160
	ds_load_2addr_b64 v[50:53], v115 offset0:132 offset1:232
	ds_load_2addr_b64 v[46:49], v91 offset0:76 offset1:176
	ds_load_2addr_b64 v[26:29], v82 offset0:20 offset1:120
	global_wb scope:SCOPE_SE
	s_wait_dscnt 0x0
	s_barrier_signal -1
	s_barrier_wait -1
	global_inv scope:SCOPE_SE
	ds_store_b128 v129, v[97:100]
	ds_store_b128 v129, v[105:108] offset:16
	ds_store_b128 v129, v[101:104] offset:32
	;; [unrolled: 1-line block ×4, first 2 shown]
	s_and_saveexec_b32 s1, s0
	s_cbranch_execz .LBB0_19
; %bb.18:
	v_add_f64_e32 v[44:45], v[44:45], v[60:61]
	v_add_f64_e32 v[36:37], v[36:37], v[56:57]
	;; [unrolled: 1-line block ×5, first 2 shown]
	v_mul_u32_u24_e32 v54, 10, v112
	s_delay_alu instid0(VALU_DEP_1) | instskip(NEXT) | instid1(VALU_DEP_1)
	v_lshlrev_b32_e32 v54, 3, v54
	v_add3_u32 v54, 0, v54, v96
	v_add_f64_e32 v[44:45], v[44:45], v[80:81]
	v_add_f64_e32 v[36:37], v[36:37], v[64:65]
	s_delay_alu instid0(VALU_DEP_2) | instskip(NEXT) | instid1(VALU_DEP_2)
	v_add_f64_e32 v[44:45], v[44:45], v[68:69]
	v_add_f64_e32 v[36:37], v[72:73], v[36:37]
	s_delay_alu instid0(VALU_DEP_2) | instskip(NEXT) | instid1(VALU_DEP_2)
	v_add_f64_e32 v[60:61], v[76:77], v[44:45]
	v_add_f64_e32 v[36:37], v[84:85], v[36:37]
	;; [unrolled: 1-line block ×3, first 2 shown]
	s_delay_alu instid0(VALU_DEP_2)
	v_add_f64_e32 v[42:43], v[60:61], v[36:37]
	v_add_f64_e64 v[36:37], v[60:61], -v[36:37]
	ds_store_b128 v54, v[42:45]
	ds_store_b128 v54, v[56:59] offset:16
	ds_store_b128 v54, v[34:37] offset:32
	ds_store_b128 v54, v[8:11] offset:48
	ds_store_b128 v54, v[12:15] offset:64
.LBB0_19:
	s_wait_alu 0xfffe
	s_or_b32 exec_lo, exec_lo, s1
	v_and_b32_e32 v34, 0xff, v128
	global_wb scope:SCOPE_SE
	s_wait_dscnt 0x0
	s_barrier_signal -1
	s_barrier_wait -1
	global_inv scope:SCOPE_SE
	v_mul_lo_u16 v34, 0xcd, v34
	s_mov_b32 s18, 0x667f3bcd
	s_mov_b32 s19, 0x3fe6a09e
	;; [unrolled: 1-line block ×3, first 2 shown]
	s_wait_alu 0xfffe
	s_mov_b32 s20, s18
	v_lshrrev_b16 v72, 11, v34
	s_mov_b32 s4, 0xcf328d46
	s_mov_b32 s5, 0xbfed906b
	;; [unrolled: 1-line block ×3, first 2 shown]
	s_wait_alu 0xfffe
	s_mov_b32 s14, s4
	v_mul_lo_u16 v34, v72, 10
	s_mov_b32 s10, 0xa6aea964
	s_mov_b32 s11, 0x3fd87de2
	;; [unrolled: 1-line block ×3, first 2 shown]
	s_wait_alu 0xfffe
	s_mov_b32 s8, s10
	v_sub_nc_u16 v34, v128, v34
	v_and_b32_e32 v72, 0xffff, v72
	s_delay_alu instid0(VALU_DEP_2) | instskip(NEXT) | instid1(VALU_DEP_2)
	v_and_b32_e32 v73, 0xff, v34
	v_mul_u32_u24_e32 v72, 0xa0, v72
	s_delay_alu instid0(VALU_DEP_2) | instskip(NEXT) | instid1(VALU_DEP_2)
	v_mul_u32_u24_e32 v34, 15, v73
	v_or_b32_e32 v72, v72, v73
	s_delay_alu instid0(VALU_DEP_2) | instskip(NEXT) | instid1(VALU_DEP_2)
	v_lshlrev_b32_e32 v54, 4, v34
	v_lshlrev_b32_e32 v72, 3, v72
	s_clause 0xe
	global_load_b128 v[66:69], v54, s[12:13]
	global_load_b128 v[62:65], v54, s[12:13] offset:16
	global_load_b128 v[58:61], v54, s[12:13] offset:32
	;; [unrolled: 1-line block ×14, first 2 shown]
	ds_load_2addr_b64 v[141:144], v113 offset0:100 offset1:200
	ds_load_2addr_b64 v[92:95], v92 offset0:44 offset1:144
	;; [unrolled: 1-line block ×7, first 2 shown]
	ds_load_b64 v[181:182], v113 offset:12000
	ds_load_b64 v[74:75], v114
	global_wb scope:SCOPE_SE
	s_wait_loadcnt_dscnt 0x0
	s_barrier_signal -1
	s_barrier_wait -1
	global_inv scope:SCOPE_SE
	v_mul_f64_e32 v[84:85], v[141:142], v[68:69]
	v_mul_f64_e32 v[90:91], v[143:144], v[64:65]
	;; [unrolled: 1-line block ×28, first 2 shown]
	v_fma_f64 v[84:85], v[38:39], v[66:67], v[84:85]
	v_fma_f64 v[40:41], v[40:41], v[62:63], v[90:91]
	v_mul_f64_e32 v[90:91], v[181:182], v[139:140]
	v_fma_f64 v[30:31], v[30:31], v[58:59], v[109:110]
	v_fma_f64 v[38:39], v[94:95], v[42:43], -v[157:158]
	v_fma_f64 v[94:95], v[153:154], v[76:77], -v[159:160]
	;; [unrolled: 1-line block ×4, first 2 shown]
	v_fma_f64 v[151:152], v[20:21], v[34:35], v[165:166]
	v_fma_f64 v[50:51], v[50:51], v[105:106], v[167:168]
	;; [unrolled: 1-line block ×3, first 2 shown]
	v_fma_f64 v[82:83], v[82:83], v[120:121], -v[171:172]
	v_fma_f64 v[80:81], v[80:81], v[124:125], -v[173:174]
	;; [unrolled: 1-line block ×3, first 2 shown]
	v_fma_f64 v[46:47], v[46:47], v[133:134], v[177:178]
	v_fma_f64 v[153:154], v[181:182], v[137:138], -v[179:180]
	v_fma_f64 v[66:67], v[141:142], v[66:67], -v[68:69]
	;; [unrolled: 1-line block ×4, first 2 shown]
	v_fma_f64 v[32:33], v[32:33], v[42:43], v[44:45]
	v_fma_f64 v[42:43], v[48:49], v[101:102], v[103:104]
	;; [unrolled: 1-line block ×3, first 2 shown]
	v_fma_f64 v[44:45], v[147:148], v[116:117], -v[118:119]
	v_fma_f64 v[28:29], v[28:29], v[120:121], v[122:123]
	v_fma_f64 v[48:49], v[22:23], v[76:77], v[78:79]
	;; [unrolled: 1-line block ×3, first 2 shown]
	v_fma_f64 v[64:65], v[145:146], v[105:106], -v[107:108]
	v_fma_f64 v[68:69], v[149:150], v[133:134], -v[135:136]
	v_fma_f64 v[18:19], v[18:19], v[129:130], v[131:132]
	v_add3_u32 v119, 0, v72, v96
	v_add_nc_u32_e32 v118, 0x2200, v113
	v_fma_f64 v[70:71], v[70:71], v[137:138], v[90:91]
	v_add_f64_e64 v[22:23], v[38:39], -v[139:140]
	v_add_f64_e64 v[76:77], v[16:17], -v[151:152]
	;; [unrolled: 1-line block ×15, first 2 shown]
	v_add_f64_e32 v[90:91], v[76:77], v[22:23]
	v_fma_f64 v[16:17], v[16:17], 2.0, -v[76:77]
	v_fma_f64 v[40:41], v[40:41], 2.0, -v[52:53]
	v_add_f64_e32 v[97:98], v[52:53], v[78:79]
	v_add_f64_e32 v[92:93], v[50:51], v[80:81]
	v_fma_f64 v[84:85], v[84:85], 2.0, -v[50:51]
	v_fma_f64 v[30:31], v[30:31], 2.0, -v[46:47]
	v_add_f64_e32 v[99:100], v[46:47], v[82:83]
	v_fma_f64 v[54:55], v[54:55], 2.0, -v[82:83]
	v_fma_f64 v[70:71], v[32:33], 2.0, -v[58:59]
	;; [unrolled: 1-line block ×6, first 2 shown]
	v_add_f64_e64 v[101:102], v[42:43], -v[28:29]
	v_fma_f64 v[28:29], v[60:61], 2.0, -v[44:45]
	v_add_f64_e64 v[26:27], v[64:65], -v[26:27]
	v_fma_f64 v[66:67], v[66:67], 2.0, -v[64:65]
	v_fma_f64 v[18:19], v[18:19], 2.0, -v[68:69]
	v_add_f64_e64 v[60:61], v[44:45], -v[68:69]
	v_fma_f64 v[68:69], v[94:95], 2.0, -v[80:81]
	v_fma_f64 v[76:77], v[76:77], 2.0, -v[90:91]
	v_fma_f64 v[52:53], v[52:53], 2.0, -v[97:98]
	v_fma_f64 v[50:51], v[50:51], 2.0, -v[92:93]
	v_fma_f64 v[46:47], v[46:47], 2.0, -v[99:100]
	v_add_f64_e64 v[94:95], v[16:17], -v[70:71]
	v_add_f64_e64 v[82:83], v[40:41], -v[24:25]
	;; [unrolled: 1-line block ×4, first 2 shown]
	v_fma_f64 v[62:63], v[97:98], s[18:19], v[90:91]
	v_add_f64_e64 v[54:55], v[28:29], -v[54:55]
	v_fma_f64 v[48:49], v[64:65], 2.0, -v[26:27]
	v_fma_f64 v[64:65], v[99:100], s[18:19], v[92:93]
	v_fma_f64 v[42:43], v[42:43], 2.0, -v[101:102]
	v_add_f64_e64 v[18:19], v[30:31], -v[18:19]
	v_fma_f64 v[44:45], v[44:45], 2.0, -v[60:61]
	v_add_f64_e64 v[103:104], v[66:67], -v[68:69]
	v_fma_f64 v[68:69], v[60:61], s[18:19], v[26:27]
	v_fma_f64 v[70:71], v[52:53], s[20:21], v[76:77]
	;; [unrolled: 1-line block ×3, first 2 shown]
	v_fma_f64 v[16:17], v[16:17], 2.0, -v[94:95]
	v_fma_f64 v[40:41], v[40:41], 2.0, -v[82:83]
	v_add_f64_e32 v[107:108], v[94:95], v[78:79]
	v_fma_f64 v[105:106], v[84:85], 2.0, -v[24:25]
	v_fma_f64 v[109:110], v[101:102], s[18:19], v[62:63]
	v_add_f64_e32 v[120:121], v[24:25], v[54:55]
	v_fma_f64 v[28:29], v[28:29], 2.0, -v[54:55]
	v_fma_f64 v[62:63], v[60:61], s[18:19], v[64:65]
	v_fma_f64 v[30:31], v[30:31], 2.0, -v[18:19]
	v_fma_f64 v[84:85], v[44:45], s[20:21], v[48:49]
	v_fma_f64 v[116:117], v[42:43], s[18:19], v[70:71]
	v_fma_f64 v[70:71], v[66:67], 2.0, -v[103:104]
	v_fma_f64 v[60:61], v[44:45], s[18:19], v[80:81]
	v_fma_f64 v[80:81], v[99:100], s[20:21], v[68:69]
	v_add_f64_e64 v[44:45], v[103:104], -v[18:19]
	v_add_f64_e64 v[40:41], v[16:17], -v[40:41]
	v_fma_f64 v[54:55], v[94:95], 2.0, -v[107:108]
	v_fma_f64 v[99:100], v[90:91], 2.0, -v[109:110]
	;; [unrolled: 1-line block ×3, first 2 shown]
	v_fma_f64 v[18:19], v[120:121], s[18:19], v[107:108]
	v_fma_f64 v[68:69], v[92:93], 2.0, -v[62:63]
	v_add_f64_e64 v[64:65], v[105:106], -v[30:31]
	v_fma_f64 v[84:85], v[46:47], s[20:21], v[84:85]
	v_fma_f64 v[46:47], v[76:77], 2.0, -v[116:117]
	v_add_f64_e64 v[90:91], v[70:71], -v[28:29]
	v_fma_f64 v[66:67], v[50:51], 2.0, -v[60:61]
	v_fma_f64 v[92:93], v[26:27], 2.0, -v[80:81]
	v_fma_f64 v[26:27], v[62:63], s[14:15], v[109:110]
	v_fma_f64 v[50:51], v[103:104], 2.0, -v[44:45]
	v_fma_f64 v[76:77], v[16:17], 2.0, -v[40:41]
	v_fma_f64 v[16:17], v[122:123], s[20:21], v[54:55]
	v_fma_f64 v[24:25], v[44:45], s[18:19], v[18:19]
	s_wait_alu 0xfffe
	v_fma_f64 v[30:31], v[68:69], s[8:9], v[99:100]
	v_fma_f64 v[103:104], v[105:106], 2.0, -v[64:65]
	v_fma_f64 v[105:106], v[60:61], s[10:11], v[116:117]
	v_fma_f64 v[94:95], v[48:49], 2.0, -v[84:85]
	v_add_f64_e32 v[28:29], v[40:41], v[90:91]
	v_fma_f64 v[48:49], v[66:67], s[4:5], v[46:47]
	v_fma_f64 v[26:27], v[80:81], s[10:11], v[26:27]
	;; [unrolled: 1-line block ×3, first 2 shown]
	v_fma_f64 v[126:127], v[107:108], 2.0, -v[24:25]
	v_fma_f64 v[18:19], v[92:93], s[14:15], v[30:31]
	v_add_f64_e64 v[124:125], v[76:77], -v[103:104]
	v_fma_f64 v[30:31], v[84:85], s[14:15], v[105:106]
	v_mul_f64_e32 v[106:107], s[18:19], v[97:98]
	v_mul_f64_e32 v[104:105], s[18:19], v[52:53]
	;; [unrolled: 1-line block ×3, first 2 shown]
	v_fma_f64 v[40:41], v[40:41], 2.0, -v[28:29]
	v_fma_f64 v[48:49], v[94:95], s[10:11], v[48:49]
	v_fma_f64 v[129:130], v[109:110], 2.0, -v[26:27]
	v_mul_f64_e32 v[108:109], s[18:19], v[101:102]
	v_mul_f64_e32 v[110:111], s[18:19], v[42:43]
	;; [unrolled: 1-line block ×3, first 2 shown]
	v_fma_f64 v[54:55], v[54:55], 2.0, -v[16:17]
	v_fma_f64 v[131:132], v[99:100], 2.0, -v[18:19]
	v_mul_f64_e32 v[98:99], s[18:19], v[120:121]
	v_mul_f64_e32 v[100:101], s[18:19], v[50:51]
	v_fma_f64 v[76:77], v[76:77], 2.0, -v[124:125]
	v_fma_f64 v[133:134], v[116:117], 2.0, -v[30:31]
	v_add_nc_u32_e32 v116, 0x400, v113
	v_add_nc_u32_e32 v117, 0xe00, v113
	v_fma_f64 v[46:47], v[46:47], 2.0, -v[48:49]
	ds_store_2addr_b64 v119, v[24:25], v[26:27] offset0:140 offset1:150
	ds_store_2addr_b64 v119, v[126:127], v[129:130] offset0:60 offset1:70
	;; [unrolled: 1-line block ×7, first 2 shown]
	ds_store_2addr_b64 v119, v[76:77], v[46:47] offset1:10
	global_wb scope:SCOPE_SE
	s_wait_dscnt 0x0
	s_barrier_signal -1
	s_barrier_wait -1
	global_inv scope:SCOPE_SE
	ds_load_2addr_b64 v[48:51], v116 offset0:32 offset1:192
	ds_load_2addr_b64 v[40:43], v117 offset0:32 offset1:192
	ds_load_2addr_b64 v[44:47], v115 offset0:32 offset1:192
	ds_load_2addr_b64 v[52:55], v118 offset0:32 offset1:192
	ds_load_b64 v[72:73], v114
	ds_load_b64 v[76:77], v113 offset:11520
	s_and_saveexec_b32 s1, s0
	s_cbranch_execz .LBB0_21
; %bb.20:
	v_add_nc_u32_e32 v0, 0x200, v113
	v_add_nc_u32_e32 v1, 0xc00, v113
	;; [unrolled: 1-line block ×5, first 2 shown]
	ds_load_2addr_b64 v[16:19], v0 offset0:36 offset1:196
	ds_load_2addr_b64 v[28:31], v1 offset0:36 offset1:196
	;; [unrolled: 1-line block ×5, first 2 shown]
.LBB0_21:
	s_wait_alu 0xfffe
	s_or_b32 exec_lo, exec_lo, s1
	v_mul_f64_e32 v[20:21], v[20:21], v[36:37]
	v_fma_f64 v[22:23], v[38:39], 2.0, -v[22:23]
	v_fma_f64 v[32:33], v[32:33], 2.0, -v[78:79]
	;; [unrolled: 1-line block ×3, first 2 shown]
	global_wb scope:SCOPE_SE
	s_wait_dscnt 0x0
	s_barrier_signal -1
	s_barrier_wait -1
	global_inv scope:SCOPE_SE
	v_fma_f64 v[20:21], v[56:57], v[34:35], -v[20:21]
	s_delay_alu instid0(VALU_DEP_1) | instskip(NEXT) | instid1(VALU_DEP_1)
	v_add_f64_e64 v[20:21], v[74:75], -v[20:21]
	v_add_f64_e64 v[34:35], v[20:21], -v[58:59]
	v_fma_f64 v[36:37], v[74:75], 2.0, -v[20:21]
	s_delay_alu instid0(VALU_DEP_2) | instskip(NEXT) | instid1(VALU_DEP_2)
	v_fma_f64 v[20:21], v[20:21], 2.0, -v[34:35]
	v_add_f64_e64 v[22:23], v[36:37], -v[22:23]
	v_add_f64_e32 v[38:39], v[34:35], v[108:109]
	s_delay_alu instid0(VALU_DEP_3) | instskip(NEXT) | instid1(VALU_DEP_3)
	v_add_f64_e64 v[56:57], v[20:21], -v[110:111]
	v_add_f64_e64 v[58:59], v[22:23], -v[82:83]
	s_delay_alu instid0(VALU_DEP_3) | instskip(SKIP_1) | instid1(VALU_DEP_4)
	v_add_f64_e64 v[74:75], v[38:39], -v[106:107]
	v_fma_f64 v[36:37], v[36:37], 2.0, -v[22:23]
	v_add_f64_e64 v[56:57], v[56:57], -v[104:105]
	s_delay_alu instid0(VALU_DEP_4) | instskip(NEXT) | instid1(VALU_DEP_4)
	v_fma_f64 v[78:79], v[22:23], 2.0, -v[58:59]
	v_fma_f64 v[82:83], v[34:35], 2.0, -v[74:75]
	s_delay_alu instid0(VALU_DEP_4)
	v_add_f64_e64 v[104:105], v[36:37], -v[32:33]
	v_fma_f64 v[22:23], v[80:81], s[14:15], v[74:75]
	v_fma_f64 v[106:107], v[20:21], 2.0, -v[56:57]
	v_add_f64_e32 v[20:21], v[58:59], v[102:103]
	v_add_f64_e64 v[38:39], v[78:79], -v[100:101]
	v_fma_f64 v[80:81], v[92:93], s[8:9], v[82:83]
	v_fma_f64 v[84:85], v[84:85], s[10:11], v[56:57]
	v_fma_f64 v[90:91], v[36:37], 2.0, -v[104:105]
	v_fma_f64 v[34:35], v[62:63], s[8:9], v[22:23]
	v_add_f64_e64 v[36:37], v[104:105], -v[64:65]
	v_fma_f64 v[92:93], v[94:95], s[4:5], v[106:107]
	v_add_f64_e64 v[32:33], v[20:21], -v[98:99]
	v_add_f64_e64 v[20:21], v[38:39], -v[96:97]
	v_fma_f64 v[22:23], v[68:69], s[4:5], v[80:81]
	v_fma_f64 v[38:39], v[60:61], s[4:5], v[84:85]
	v_add_f64_e64 v[60:61], v[90:91], -v[70:71]
	v_fma_f64 v[64:65], v[74:75], 2.0, -v[34:35]
	v_add_nc_u32_e32 v80, 0x1800, v113
	v_fma_f64 v[62:63], v[66:67], s[8:9], v[92:93]
	v_fma_f64 v[58:59], v[58:59], 2.0, -v[32:33]
	v_fma_f64 v[68:69], v[78:79], 2.0, -v[20:21]
	;; [unrolled: 1-line block ×7, first 2 shown]
	ds_store_2addr_b64 v119, v[32:33], v[34:35] offset0:140 offset1:150
	ds_store_2addr_b64 v119, v[58:59], v[64:65] offset0:60 offset1:70
	;; [unrolled: 1-line block ×7, first 2 shown]
	ds_store_2addr_b64 v119, v[74:75], v[78:79] offset1:10
	global_wb scope:SCOPE_SE
	s_wait_dscnt 0x0
	s_barrier_signal -1
	s_barrier_wait -1
	global_inv scope:SCOPE_SE
	ds_load_2addr_b64 v[56:59], v116 offset0:32 offset1:192
	ds_load_2addr_b64 v[64:67], v117 offset0:32 offset1:192
	;; [unrolled: 1-line block ×4, first 2 shown]
	ds_load_b64 v[74:75], v114
	ds_load_b64 v[78:79], v113 offset:11520
	s_and_saveexec_b32 s1, s0
	s_cbranch_execz .LBB0_23
; %bb.22:
	v_add_nc_u32_e32 v8, 0x200, v113
	v_add_nc_u32_e32 v9, 0xc00, v113
	;; [unrolled: 1-line block ×5, first 2 shown]
	ds_load_2addr_b64 v[20:23], v8 offset0:36 offset1:196
	ds_load_2addr_b64 v[36:39], v9 offset0:36 offset1:196
	;; [unrolled: 1-line block ×5, first 2 shown]
.LBB0_23:
	s_wait_alu 0xfffe
	s_or_b32 exec_lo, exec_lo, s1
	s_and_saveexec_b32 s1, vcc_lo
	s_cbranch_execz .LBB0_26
; %bb.24:
	v_mul_u32_u24_e32 v80, 9, v128
	v_mul_lo_u32 v127, s3, v88
	s_mov_b32 s20, 0x134454ff
	s_mov_b32 s21, 0xbfee6f0e
	;; [unrolled: 1-line block ×3, first 2 shown]
	v_lshlrev_b32_e32 v84, 4, v80
	s_wait_alu 0xfffe
	s_mov_b32 s10, s20
	s_mov_b32 s22, 0x4755a5e
	;; [unrolled: 1-line block ×4, first 2 shown]
	s_clause 0x8
	global_load_b128 v[80:83], v84, s[12:13] offset:2464
	global_load_b128 v[90:93], v84, s[12:13] offset:2496
	;; [unrolled: 1-line block ×9, first 2 shown]
	s_wait_alu 0xfffe
	s_mov_b32 s14, s22
	v_lshlrev_b64_e32 v[86:87], 4, v[86:87]
	s_mov_b32 s18, 0x372fe950
	s_mov_b32 s19, 0x3fd3c6ef
	;; [unrolled: 1-line block ×5, first 2 shown]
	s_wait_alu 0xfffe
	s_mov_b32 s28, s24
	s_mov_b32 s27, 0xbfd3c6ef
	;; [unrolled: 1-line block ×3, first 2 shown]
	s_wait_loadcnt 0x8
	v_mul_f64_e32 v[84:85], v[44:45], v[82:83]
	s_wait_loadcnt 0x7
	v_mul_f64_e32 v[110:111], v[52:53], v[92:93]
	;; [unrolled: 2-line block ×4, first 2 shown]
	v_mul_f64_e32 v[131:132], v[40:41], v[94:95]
	v_mul_f64_e32 v[44:45], v[44:45], v[80:81]
	;; [unrolled: 1-line block ×4, first 2 shown]
	s_wait_loadcnt 0x4
	v_mul_f64_e32 v[135:136], v[48:49], v[104:105]
	s_wait_dscnt 0x3
	v_fma_f64 v[80:81], v[68:69], v[80:81], -v[84:85]
	s_wait_dscnt 0x2
	v_fma_f64 v[52:53], v[60:61], v[90:91], -v[110:111]
	v_fma_f64 v[84:85], v[64:65], v[94:95], -v[125:126]
	s_wait_dscnt 0x0
	v_fma_f64 v[40:41], v[78:79], v[98:99], -v[129:130]
	v_mul_lo_u32 v129, s2, v89
	s_wait_loadcnt 0x3
	v_mul_f64_e32 v[89:90], v[42:43], v[108:109]
	s_wait_loadcnt 0x2
	v_mul_f64_e32 v[94:95], v[46:47], v[115:116]
	;; [unrolled: 2-line block ×4, first 2 shown]
	v_mul_f64_e32 v[108:109], v[66:67], v[108:109]
	v_mul_f64_e32 v[115:116], v[70:71], v[115:116]
	;; [unrolled: 1-line block ×3, first 2 shown]
	v_fma_f64 v[64:65], v[64:65], v[96:97], v[131:132]
	v_fma_f64 v[68:69], v[68:69], v[82:83], v[44:45]
	;; [unrolled: 1-line block ×3, first 2 shown]
	v_fma_f64 v[76:77], v[56:57], v[102:103], -v[135:136]
	v_fma_f64 v[60:61], v[60:61], v[92:93], v[133:134]
	v_mul_f64_e32 v[119:120], v[58:59], v[119:120]
	v_mul_f64_e32 v[123:124], v[62:63], v[123:124]
	v_mad_co_u64_u32 v[91:92], null, s2, v88, 0
	v_mul_hi_u32 v49, 0xcccccccd, v128
	s_delay_alu instid0(VALU_DEP_2) | instskip(NEXT) | instid1(VALU_DEP_2)
	v_add3_u32 v92, v92, v129, v127
	v_lshrrev_b32_e32 v49, 7, v49
	s_delay_alu instid0(VALU_DEP_1) | instskip(SKIP_2) | instid1(VALU_DEP_3)
	v_mul_lo_u32 v100, 0xa0, v49
	v_add_f64_e32 v[78:79], v[80:81], v[52:53]
	v_add_f64_e32 v[82:83], v[84:85], v[40:41]
	v_sub_nc_u32_e32 v127, v128, v100
	v_fma_f64 v[66:67], v[66:67], v[106:107], -v[89:90]
	v_fma_f64 v[70:71], v[70:71], v[113:114], -v[94:95]
	;; [unrolled: 1-line block ×4, first 2 shown]
	v_lshlrev_b64_e32 v[88:89], 4, v[91:92]
	v_fma_f64 v[90:91], v[42:43], v[106:107], v[108:109]
	v_fma_f64 v[46:47], v[46:47], v[113:114], v[115:116]
	;; [unrolled: 1-line block ×3, first 2 shown]
	v_add_f64_e64 v[100:101], v[80:81], -v[52:53]
	v_add_f64_e32 v[94:95], v[64:65], v[44:45]
	v_add_f64_e64 v[96:97], v[64:65], -v[44:45]
	v_add_f64_e32 v[92:93], v[68:69], v[60:61]
	v_add_co_u32 v42, s1, s6, v88
	v_fma_f64 v[49:50], v[50:51], v[117:118], v[119:120]
	v_fma_f64 v[54:55], v[54:55], v[121:122], v[123:124]
	v_add_f64_e64 v[98:99], v[68:69], -v[60:61]
	s_wait_alu 0xf1ff
	v_add_co_ci_u32_e64 v43, s1, s7, v89, s1
	v_add_f64_e64 v[104:105], v[84:85], -v[80:81]
	v_add_f64_e64 v[106:107], v[40:41], -v[52:53]
	;; [unrolled: 1-line block ×7, first 2 shown]
	v_add_co_u32 v42, s1, v42, v86
	s_wait_alu 0xf1ff
	v_add_co_ci_u32_e64 v43, s1, v43, v87, s1
	v_mad_co_u64_u32 v[86:87], null, s16, v127, 0
	v_add_f64_e64 v[145:146], v[44:45], -v[60:61]
	v_add_f64_e64 v[149:150], v[60:61], -v[44:45]
	v_fma_f64 v[78:79], v[78:79], -0.5, v[76:77]
	v_add_nc_u32_e32 v169, 0x460, v127
	v_fma_f64 v[82:83], v[82:83], -0.5, v[76:77]
	v_add_f64_e32 v[76:77], v[84:85], v[76:77]
	v_mov_b32_e32 v51, v87
	v_add_f64_e32 v[88:89], v[66:67], v[70:71]
	v_add_f64_e32 v[151:152], v[74:75], v[58:59]
	;; [unrolled: 1-line block ×3, first 2 shown]
	v_add_f64_e64 v[84:85], v[66:67], -v[70:71]
	v_mad_co_u64_u32 v[137:138], null, s16, v169, 0
	v_add_f64_e32 v[115:116], v[90:91], v[46:47]
	v_add_f64_e64 v[141:142], v[90:91], -v[46:47]
	v_fma_f64 v[94:95], v[94:95], -0.5, v[56:57]
	v_add_nc_u32_e32 v168, 0x3c0, v127
	v_fma_f64 v[92:93], v[92:93], -0.5, v[56:57]
	v_add_f64_e32 v[56:57], v[64:65], v[56:57]
	v_add_nc_u32_e32 v164, 0x140, v127
	v_add_f64_e32 v[153:154], v[72:73], v[49:50]
	v_add_f64_e32 v[117:118], v[49:50], v[54:55]
	v_add_f64_e64 v[139:140], v[49:50], -v[54:55]
	v_add_f64_e64 v[157:158], v[49:50], -v[90:91]
	;; [unrolled: 1-line block ×3, first 2 shown]
	v_mad_co_u64_u32 v[125:126], null, s16, v164, 0
	v_add_f64_e32 v[104:105], v[104:105], v[106:107]
	v_or_b32_e32 v170, 0x500, v127
	v_add_f64_e64 v[155:156], v[70:71], -v[62:63]
	v_add_f64_e64 v[159:160], v[54:55], -v[46:47]
	;; [unrolled: 1-line block ×3, first 2 shown]
	v_add_f64_e32 v[143:144], v[143:144], v[145:146]
	v_add_f64_e32 v[145:146], v[147:148], v[149:150]
	v_fma_f64 v[121:122], v[96:97], s[20:21], v[78:79]
	v_fma_f64 v[78:79], v[96:97], s[10:11], v[78:79]
	;; [unrolled: 1-line block ×4, first 2 shown]
	v_add_f64_e32 v[76:77], v[80:81], v[76:77]
	v_fma_f64 v[64:65], v[88:89], -0.5, v[74:75]
	v_mov_b32_e32 v89, v126
	v_fma_f64 v[74:75], v[108:109], -0.5, v[74:75]
	v_add_f64_e32 v[108:109], v[110:111], v[113:114]
	v_add_f64_e64 v[87:88], v[58:59], -v[62:63]
	v_fma_f64 v[106:107], v[115:116], -0.5, v[72:73]
	v_fma_f64 v[113:114], v[100:101], s[20:21], v[94:95]
	v_fma_f64 v[94:95], v[100:101], s[10:11], v[94:95]
	;; [unrolled: 1-line block ×4, first 2 shown]
	v_add_f64_e32 v[56:57], v[68:69], v[56:57]
	v_add_f64_e32 v[80:81], v[153:154], v[90:91]
	v_fma_f64 v[72:73], v[117:118], -0.5, v[72:73]
	v_add_f64_e32 v[49:50], v[49:50], v[161:162]
	v_fma_f64 v[115:116], v[98:99], s[22:23], v[121:122]
	v_fma_f64 v[78:79], v[98:99], s[14:15], v[78:79]
	;; [unrolled: 1-line block ×4, first 2 shown]
	v_mad_co_u64_u32 v[121:122], null, s17, v127, v[51:52]
	v_add_f64_e64 v[122:123], v[58:59], -v[66:67]
	v_fma_f64 v[90:91], v[141:142], s[10:11], v[74:75]
	v_add_f64_e64 v[58:59], v[66:67], -v[58:59]
	v_add_f64_e32 v[66:67], v[151:152], v[66:67]
	v_fma_f64 v[68:69], v[139:140], s[20:21], v[64:65]
	v_fma_f64 v[74:75], v[141:142], s[20:21], v[74:75]
	;; [unrolled: 1-line block ×11, first 2 shown]
	v_add_f64_e32 v[56:57], v[60:61], v[56:57]
	v_add_f64_e32 v[46:47], v[80:81], v[46:47]
	v_mad_co_u64_u32 v[96:97], null, s16, v170, 0
	v_fma_f64 v[102:103], v[104:105], s[18:19], v[115:116]
	v_fma_f64 v[78:79], v[104:105], s[18:19], v[78:79]
	v_mov_b32_e32 v105, v138
	v_mad_co_u64_u32 v[135:136], null, s16, v168, 0
	v_add_nc_u32_e32 v167, 0x320, v127
	v_fma_f64 v[115:116], v[108:109], s[18:19], v[117:118]
	v_mad_co_u64_u32 v[117:118], null, s17, v164, v[89:90]
	v_add_nc_u32_e32 v171, 0x5a0, v127
	v_fma_f64 v[82:83], v[108:109], s[18:19], v[82:83]
	v_mov_b32_e32 v104, v136
	v_mad_co_u64_u32 v[133:134], null, s16, v167, 0
	v_add_nc_u32_e32 v166, 0x280, v127
	v_add_f64_e32 v[66:67], v[66:67], v[70:71]
	v_fma_f64 v[60:61], v[141:142], s[22:23], v[68:69]
	v_fma_f64 v[68:69], v[139:140], s[22:23], v[90:91]
	v_fma_f64 v[90:91], v[145:146], s[18:19], v[94:95]
	v_add_f64_e32 v[58:59], v[58:59], v[155:156]
	v_mov_b32_e32 v101, v134
	v_mad_co_u64_u32 v[131:132], null, s16, v166, 0
	v_add_nc_u32_e32 v165, 0x1e0, v127
	v_fma_f64 v[64:65], v[141:142], s[14:15], v[64:65]
	v_fma_f64 v[72:73], v[87:88], s[22:23], v[72:73]
	;; [unrolled: 1-line block ×4, first 2 shown]
	v_mov_b32_e32 v100, v132
	v_mad_co_u64_u32 v[129:130], null, s16, v165, 0
	v_add_nc_u32_e32 v163, 0xa0, v127
	v_add_f64_e64 v[126:127], v[62:63], -v[70:71]
	v_fma_f64 v[70:71], v[139:140], s[14:15], v[74:75]
	v_fma_f64 v[74:75], v[84:85], s[14:15], v[147:148]
	;; [unrolled: 1-line block ×3, first 2 shown]
	v_mad_co_u64_u32 v[119:120], null, s16, v163, 0
	v_mul_f64_e32 v[94:95], s[24:25], v[102:103]
	s_wait_alu 0xfffe
	v_mul_f64_e32 v[106:107], s[28:29], v[78:79]
	v_mul_f64_e32 v[102:103], s[22:23], v[102:103]
	v_add_nc_u32_e32 v48, 0x64, v128
	v_mul_f64_e32 v[78:79], s[22:23], v[78:79]
	v_mad_co_u64_u32 v[138:139], null, s17, v168, v[104:105]
	v_dual_mov_b32 v51, v120 :: v_dual_mov_b32 v120, v130
	s_delay_alu instid0(VALU_DEP_4) | instskip(NEXT) | instid1(VALU_DEP_2)
	v_cmp_gt_u32_e32 vcc_lo, 0xa0, v48
	v_mad_co_u64_u32 v[108:109], null, s17, v163, v[51:52]
	s_delay_alu instid0(VALU_DEP_3)
	v_mad_co_u64_u32 v[151:152], null, s17, v165, v[120:121]
	v_mad_co_u64_u32 v[152:153], null, s17, v166, v[100:101]
	v_add_f64_e32 v[51:52], v[52:53], v[76:77]
	v_add_f64_e32 v[153:154], v[157:158], v[159:160]
	v_fma_f64 v[76:77], v[87:88], s[14:15], v[149:150]
	v_fma_f64 v[88:89], v[145:146], s[18:19], v[113:114]
	v_mul_f64_e32 v[109:110], s[26:27], v[115:116]
	v_mul_f64_e32 v[113:114], s[18:19], v[82:83]
	;; [unrolled: 1-line block ×4, first 2 shown]
	v_mov_b32_e32 v120, v108
	v_add_f64_e32 v[62:63], v[62:63], v[66:67]
	v_add_f64_e32 v[53:54], v[54:55], v[46:47]
	;; [unrolled: 1-line block ×3, first 2 shown]
	v_dual_mov_b32 v136, v138 :: v_dual_mov_b32 v87, v121
	v_mov_b32_e32 v130, v151
	v_add_f64_e32 v[122:123], v[122:123], v[126:127]
	v_mov_b32_e32 v126, v117
	v_mad_co_u64_u32 v[98:99], null, s16, v171, 0
	v_lshlrev_b64_e32 v[86:87], 4, v[86:87]
	v_mad_co_u64_u32 v[104:105], null, s17, v169, v[105:106]
	v_mad_co_u64_u32 v[100:101], null, s17, v167, v[101:102]
	s_delay_alu instid0(VALU_DEP_4)
	v_mad_co_u64_u32 v[139:140], null, s17, v170, v[97:98]
	v_fma_f64 v[102:103], v[80:81], s[24:25], v[102:103]
	v_mov_b32_e32 v132, v152
	v_mov_b32_e32 v138, v104
	v_add_co_u32 v86, s1, v42, v86
	v_mad_co_u64_u32 v[140:141], null, s17, v171, v[99:100]
	v_dual_mov_b32 v97, v139 :: v_dual_mov_b32 v134, v100
	v_fma_f64 v[100:101], v[58:59], s[18:19], v[68:69]
	v_fma_f64 v[57:58], v[58:59], s[18:19], v[70:71]
	v_add_f64_e32 v[40:41], v[40:41], v[51:52]
	v_fma_f64 v[117:118], v[153:154], s[18:19], v[74:75]
	v_mov_b32_e32 v99, v140
	v_fma_f64 v[68:69], v[80:81], s[14:15], v[94:95]
	v_fma_f64 v[70:71], v[88:89], s[10:11], v[109:110]
	;; [unrolled: 1-line block ×10, first 2 shown]
	v_add_f64_e32 v[49:50], v[53:54], v[55:56]
	v_add_f64_e64 v[44:45], v[53:54], -v[55:56]
	v_fma_f64 v[104:105], v[122:123], s[18:19], v[64:65]
	v_fma_f64 v[66:67], v[122:123], s[18:19], v[60:61]
	v_lshlrev_b64_e32 v[106:107], 4, v[119:120]
	v_lshlrev_b64_e32 v[113:114], 4, v[125:126]
	;; [unrolled: 1-line block ×9, first 2 shown]
	s_wait_alu 0xf1ff
	v_add_co_ci_u32_e64 v87, s1, v43, v87, s1
	v_add_co_u32 v106, s1, v42, v106
	v_add_co_u32 v113, s2, v42, v113
	;; [unrolled: 1-line block ×3, first 2 shown]
	s_wait_alu 0xf1ff
	v_add_co_ci_u32_e64 v107, s1, v43, v107, s1
	v_add_co_u32 v119, s4, v42, v119
	v_add_f64_e32 v[51:52], v[62:63], v[40:41]
	v_add_f64_e64 v[46:47], v[62:63], -v[40:41]
	v_add_f64_e64 v[53:54], v[117:118], -v[102:103]
	v_add_co_ci_u32_e64 v114, s1, v43, v114, s2
	v_add_f64_e64 v[59:60], v[100:101], -v[70:71]
	v_add_f64_e32 v[71:72], v[100:101], v[70:71]
	v_add_f64_e32 v[77:78], v[110:111], v[92:93]
	v_add_f64_e64 v[63:64], v[57:58], -v[74:75]
	v_add_f64_e32 v[75:76], v[57:58], v[74:75]
	v_add_f64_e32 v[73:74], v[108:109], v[90:91]
	v_add_f64_e64 v[81:82], v[110:111], -v[92:93]
	v_add_f64_e64 v[61:62], v[108:109], -v[90:91]
	;; [unrolled: 1-line block ×3, first 2 shown]
	v_add_co_u32 v40, s5, v42, v121
	v_add_f64_e32 v[79:80], v[104:105], v[84:85]
	v_add_f64_e64 v[55:56], v[66:67], -v[68:69]
	v_add_f64_e32 v[67:68], v[66:67], v[68:69]
	v_add_f64_e32 v[69:70], v[94:95], v[88:89]
	;; [unrolled: 1-line block ×3, first 2 shown]
	v_add_f64_e64 v[83:84], v[104:105], -v[84:85]
	v_add_co_u32 v88, s6, v42, v123
	v_add_co_u32 v90, s7, v42, v125
	;; [unrolled: 1-line block ×4, first 2 shown]
	v_add_co_ci_u32_e64 v116, s1, v43, v116, s3
	s_wait_alu 0xf1ff
	v_add_co_ci_u32_e64 v120, s1, v43, v120, s4
	v_add_co_ci_u32_e64 v41, s1, v43, v122, s5
	;; [unrolled: 1-line block ×6, first 2 shown]
	s_clause 0x9
	global_store_b128 v[86:87], v[49:52], off
	global_store_b128 v[106:107], v[77:80], off
	;; [unrolled: 1-line block ×10, first 2 shown]
	s_and_b32 exec_lo, exec_lo, vcc_lo
	s_cbranch_execz .LBB0_26
; %bb.25:
	v_subrev_nc_u32_e32 v40, 60, v128
	v_dual_mov_b32 v41, 0 :: v_dual_add_nc_u32 v122, 0x104, v128
	v_add_nc_u32_e32 v130, 0x564, v128
	s_delay_alu instid0(VALU_DEP_3) | instskip(NEXT) | instid1(VALU_DEP_1)
	v_cndmask_b32_e64 v40, v40, v112, s0
	v_mul_i32_i24_e32 v40, 9, v40
	s_delay_alu instid0(VALU_DEP_1) | instskip(NEXT) | instid1(VALU_DEP_1)
	v_lshlrev_b64_e32 v[40:41], 4, v[40:41]
	v_add_co_u32 v40, vcc_lo, s12, v40
	s_wait_alu 0xfffd
	s_delay_alu instid0(VALU_DEP_2)
	v_add_co_ci_u32_e32 v41, vcc_lo, s13, v41, vcc_lo
	s_clause 0x8
	global_load_b128 v[44:47], v[40:41], off offset:2432
	global_load_b128 v[49:52], v[40:41], off offset:2464
	;; [unrolled: 1-line block ×9, first 2 shown]
	s_wait_loadcnt 0x8
	v_mul_f64_e32 v[40:41], v[30:31], v[46:47]
	s_wait_loadcnt 0x7
	v_mul_f64_e32 v[81:82], v[26:27], v[51:52]
	;; [unrolled: 2-line block ×4, first 2 shown]
	v_mul_f64_e32 v[51:52], v[34:35], v[51:52]
	v_mul_f64_e32 v[55:56], v[10:11], v[55:56]
	s_wait_loadcnt 0x4
	v_mul_f64_e32 v[87:88], v[18:19], v[63:64]
	v_mul_f64_e32 v[46:47], v[38:39], v[46:47]
	;; [unrolled: 1-line block ×4, first 2 shown]
	v_fma_f64 v[38:39], v[38:39], v[44:45], -v[40:41]
	v_fma_f64 v[34:35], v[34:35], v[49:50], -v[81:82]
	;; [unrolled: 1-line block ×4, first 2 shown]
	s_wait_loadcnt 0x3
	v_mul_f64_e32 v[40:41], v[36:37], v[67:68]
	v_mul_f64_e32 v[67:68], v[28:29], v[67:68]
	s_wait_loadcnt 0x2
	v_mul_f64_e32 v[81:82], v[32:33], v[71:72]
	v_mul_f64_e32 v[71:72], v[24:25], v[71:72]
	s_wait_loadcnt 0x1
	v_mul_f64_e32 v[83:84], v[8:9], v[75:76]
	s_wait_loadcnt 0x0
	v_mul_f64_e32 v[85:86], v[12:13], v[79:80]
	v_mul_f64_e32 v[75:76], v[0:1], v[75:76]
	;; [unrolled: 1-line block ×3, first 2 shown]
	v_fma_f64 v[26:27], v[26:27], v[49:50], v[51:52]
	v_fma_f64 v[2:3], v[2:3], v[53:54], v[55:56]
	;; [unrolled: 1-line block ×4, first 2 shown]
	v_fma_f64 v[22:23], v[22:23], v[61:62], -v[87:88]
	v_fma_f64 v[18:19], v[18:19], v[61:62], v[63:64]
	v_mad_co_u64_u32 v[55:56], null, s16, v48, 0
	v_add_nc_u32_e32 v124, 0x244, v128
	v_add_f64_e32 v[44:45], v[34:35], v[10:11]
	v_add_f64_e32 v[46:47], v[38:39], v[14:15]
	v_fma_f64 v[28:29], v[28:29], v[65:66], v[40:41]
	v_fma_f64 v[36:37], v[36:37], v[65:66], -v[67:68]
	v_fma_f64 v[24:25], v[24:25], v[69:70], v[81:82]
	v_fma_f64 v[32:33], v[32:33], v[69:70], -v[71:72]
	v_fma_f64 v[0:1], v[0:1], v[73:74], v[83:84]
	v_fma_f64 v[4:5], v[4:5], v[77:78], v[85:86]
	v_fma_f64 v[8:9], v[8:9], v[73:74], -v[75:76]
	v_fma_f64 v[12:13], v[12:13], v[77:78], -v[79:80]
	v_add_f64_e64 v[65:66], v[38:39], -v[14:15]
	v_add_f64_e32 v[40:41], v[26:27], v[2:3]
	v_add_f64_e64 v[53:54], v[26:27], -v[2:3]
	v_add_f64_e32 v[49:50], v[30:31], v[6:7]
	v_add_f64_e64 v[51:52], v[30:31], -v[6:7]
	v_add_f64_e64 v[69:70], v[38:39], -v[34:35]
	;; [unrolled: 1-line block ×9, first 2 shown]
	v_mad_co_u64_u32 v[77:78], null, s16, v122, 0
	v_add_nc_u32_e32 v123, 0x1a4, v128
	v_fma_f64 v[44:45], v[44:45], -0.5, v[22:23]
	v_fma_f64 v[46:47], v[46:47], -0.5, v[22:23]
	v_add_f64_e32 v[95:96], v[16:17], v[28:29]
	v_add_f64_e32 v[101:102], v[20:21], v[36:37]
	;; [unrolled: 1-line block ×3, first 2 shown]
	v_add_f64_e64 v[116:117], v[36:37], -v[32:33]
	v_add_f64_e32 v[57:58], v[24:25], v[0:1]
	v_add_f64_e32 v[59:60], v[28:29], v[4:5]
	;; [unrolled: 1-line block ×4, first 2 shown]
	v_add_f64_e64 v[97:98], v[36:37], -v[12:13]
	v_fma_f64 v[40:41], v[40:41], -0.5, v[18:19]
	v_add_f64_e64 v[99:100], v[32:33], -v[8:9]
	v_fma_f64 v[49:50], v[49:50], -0.5, v[18:19]
	v_add_f64_e32 v[18:19], v[18:19], v[30:31]
	v_add_f64_e64 v[30:31], v[26:27], -v[30:31]
	v_add_f64_e64 v[36:37], v[32:33], -v[36:37]
	;; [unrolled: 1-line block ×6, first 2 shown]
	v_fma_f64 v[79:80], v[51:52], s[10:11], v[44:45]
	v_fma_f64 v[81:82], v[53:54], s[20:21], v[46:47]
	;; [unrolled: 1-line block ×4, first 2 shown]
	v_add_f64_e32 v[22:23], v[22:23], v[34:35]
	v_add_f64_e32 v[32:33], v[101:102], v[32:33]
	v_fma_f64 v[38:39], v[57:58], -0.5, v[16:17]
	v_fma_f64 v[16:17], v[59:60], -0.5, v[16:17]
	v_add_f64_e64 v[59:60], v[24:25], -v[0:1]
	v_fma_f64 v[61:62], v[61:62], -0.5, v[20:21]
	v_fma_f64 v[20:21], v[63:64], -0.5, v[20:21]
	v_add_f64_e32 v[63:64], v[69:70], v[71:72]
	v_fma_f64 v[71:72], v[65:66], s[20:21], v[40:41]
	v_add_f64_e64 v[57:58], v[28:29], -v[4:5]
	v_add_f64_e32 v[69:70], v[73:74], v[75:76]
	v_fma_f64 v[40:41], v[65:66], s[10:11], v[40:41]
	v_fma_f64 v[73:74], v[67:68], s[10:11], v[49:50]
	;; [unrolled: 1-line block ×3, first 2 shown]
	v_add_f64_e32 v[18:19], v[18:19], v[26:27]
	v_add_f64_e32 v[26:27], v[103:104], v[105:106]
	;; [unrolled: 1-line block ×4, first 2 shown]
	v_fma_f64 v[75:76], v[53:54], s[14:15], v[79:80]
	v_fma_f64 v[79:80], v[51:52], s[14:15], v[81:82]
	;; [unrolled: 1-line block ×4, first 2 shown]
	v_mad_co_u64_u32 v[52:53], null, s16, v130, 0
	v_fma_f64 v[34:35], v[97:98], s[20:21], v[38:39]
	v_fma_f64 v[38:39], v[97:98], s[10:11], v[38:39]
	v_mov_b32_e32 v51, v56
	v_mad_co_u64_u32 v[85:86], null, s16, v124, 0
	v_fma_f64 v[103:104], v[59:60], s[20:21], v[20:21]
	v_fma_f64 v[20:21], v[59:60], s[10:11], v[20:21]
	;; [unrolled: 1-line block ×3, first 2 shown]
	v_mad_co_u64_u32 v[109:110], null, s17, v48, v[51:52]
	v_mov_b32_e32 v48, v78
	v_add_f64_e64 v[110:111], v[28:29], -v[24:25]
	v_add_f64_e64 v[28:29], v[24:25], -v[28:29]
	v_add_f64_e32 v[24:25], v[95:96], v[24:25]
	v_fma_f64 v[95:96], v[99:100], s[10:11], v[16:17]
	v_fma_f64 v[101:102], v[57:58], s[10:11], v[61:62]
	;; [unrolled: 1-line block ×7, first 2 shown]
	v_mad_co_u64_u32 v[83:84], null, s16, v123, 0
	v_add_f64_e32 v[10:11], v[22:23], v[10:11]
	v_dual_mov_b32 v54, v86 :: v_dual_add_nc_u32 v125, 0x2e4, v128
	v_add_nc_u32_e32 v126, 0x384, v128
	v_add_f64_e32 v[8:9], v[32:33], v[8:9]
	v_add_f64_e32 v[2:3], v[18:19], v[2:3]
	v_mov_b32_e32 v51, v84
	v_mad_co_u64_u32 v[105:106], null, s17, v124, v[54:55]
	v_fma_f64 v[65:66], v[63:64], s[18:19], v[75:76]
	v_fma_f64 v[73:74], v[69:70], s[18:19], v[79:80]
	;; [unrolled: 1-line block ×4, first 2 shown]
	v_mad_co_u64_u32 v[87:88], null, s16, v125, 0
	v_fma_f64 v[18:19], v[99:100], s[22:23], v[34:35]
	v_fma_f64 v[22:23], v[99:100], s[14:15], v[38:39]
	v_mad_co_u64_u32 v[79:80], null, s17, v123, v[51:52]
	v_add_nc_u32_e32 v127, 0x424, v128
	v_fma_f64 v[38:39], v[57:58], s[14:15], v[103:104]
	v_mov_b32_e32 v56, v88
	v_fma_f64 v[20:21], v[57:58], s[22:23], v[20:21]
	v_fma_f64 v[57:58], v[26:27], s[18:19], v[71:72]
	v_mad_co_u64_u32 v[91:92], null, s16, v127, 0
	v_add_f64_e32 v[106:107], v[110:111], v[112:113]
	v_add_f64_e32 v[28:29], v[28:29], v[114:115]
	;; [unrolled: 1-line block ×4, first 2 shown]
	v_fma_f64 v[24:25], v[97:98], s[22:23], v[95:96]
	v_fma_f64 v[32:33], v[59:60], s[14:15], v[101:102]
	;; [unrolled: 1-line block ×3, first 2 shown]
	v_mad_co_u64_u32 v[75:76], null, s17, v122, v[48:49]
	v_fma_f64 v[40:41], v[30:31], s[18:19], v[67:68]
	v_fma_f64 v[30:31], v[30:31], s[18:19], v[49:50]
	v_fma_f64 v[16:17], v[97:98], s[14:15], v[16:17]
	v_fma_f64 v[34:35], v[59:60], s[22:23], v[61:62]
	v_dual_mov_b32 v64, v92 :: v_dual_add_nc_u32 v129, 0x4c4, v128
	v_mad_co_u64_u32 v[89:90], null, s16, v126, 0
	v_add_f64_e32 v[8:9], v[8:9], v[12:13]
	s_delay_alu instid0(VALU_DEP_3)
	v_mad_co_u64_u32 v[93:94], null, s16, v129, 0
	v_add_nc_u32_e32 v128, 0x604, v128
	v_mul_f64_e32 v[48:49], s[22:23], v[65:66]
	v_mul_f64_e32 v[65:66], s[28:29], v[65:66]
	;; [unrolled: 1-line block ×5, first 2 shown]
	v_mov_b32_e32 v69, v94
	v_mul_f64_e32 v[46:47], s[26:27], v[46:47]
	v_mul_f64_e32 v[61:62], s[22:23], v[44:45]
	;; [unrolled: 1-line block ×3, first 2 shown]
	v_mad_co_u64_u32 v[81:82], null, s16, v128, 0
	v_mov_b32_e32 v63, v90
	v_add_f64_e32 v[6:7], v[2:3], v[6:7]
	v_add_f64_e32 v[10:11], v[10:11], v[14:15]
	v_mad_co_u64_u32 v[71:72], null, s17, v125, v[56:57]
	s_delay_alu instid0(VALU_DEP_4)
	v_mad_co_u64_u32 v[72:73], null, s17, v126, v[63:64]
	v_mov_b32_e32 v70, v82
	v_add_f64_e32 v[4:5], v[0:1], v[4:5]
	v_mov_b32_e32 v84, v79
	v_fma_f64 v[79:80], v[28:29], s[18:19], v[24:25]
	v_mov_b32_e32 v88, v71
	v_mad_co_u64_u32 v[73:74], null, s17, v129, v[69:70]
	v_mad_co_u64_u32 v[69:70], null, s17, v128, v[70:71]
	v_fma_f64 v[70:71], v[106:107], s[18:19], v[18:19]
	v_fma_f64 v[97:98], v[110:111], s[18:19], v[32:33]
	v_fma_f64 v[95:96], v[28:29], s[18:19], v[16:17]
	v_fma_f64 v[99:100], v[110:111], s[18:19], v[34:35]
	v_fma_f64 v[34:35], v[36:37], s[18:19], v[38:39]
	v_fma_f64 v[38:39], v[36:37], s[18:19], v[20:21]
	v_mov_b32_e32 v78, v75
	v_fma_f64 v[74:75], v[106:107], s[18:19], v[22:23]
	v_mov_b32_e32 v56, v109
	v_mad_co_u64_u32 v[53:54], null, s17, v130, v[53:54]
	v_fma_f64 v[24:25], v[57:58], s[28:29], v[48:49]
	v_fma_f64 v[48:49], v[57:58], s[14:15], v[65:66]
	;; [unrolled: 1-line block ×5, first 2 shown]
	v_lshlrev_b64_e32 v[54:55], 4, v[55:56]
	v_fma_f64 v[46:47], v[30:31], s[10:11], v[46:47]
	v_fma_f64 v[36:37], v[26:27], s[24:25], v[61:62]
	;; [unrolled: 1-line block ×3, first 2 shown]
	v_lshlrev_b64_e32 v[0:1], 4, v[77:78]
	v_lshlrev_b64_e32 v[2:3], 4, v[83:84]
	v_add_co_u32 v54, vcc_lo, v42, v54
	s_wait_alu 0xfffd
	v_add_co_ci_u32_e32 v55, vcc_lo, v43, v55, vcc_lo
	s_delay_alu instid0(VALU_DEP_4)
	v_add_co_u32 v66, vcc_lo, v42, v0
	s_wait_alu 0xfffd
	v_add_co_ci_u32_e32 v67, vcc_lo, v43, v1, vcc_lo
	v_add_co_u32 v68, vcc_lo, v42, v2
	v_mov_b32_e32 v82, v69
	s_wait_alu 0xfffd
	v_add_co_ci_u32_e32 v69, vcc_lo, v43, v3, vcc_lo
	v_add_f64_e32 v[0:1], v[4:5], v[6:7]
	v_add_f64_e32 v[2:3], v[8:9], v[10:11]
	v_add_f64_e64 v[4:5], v[4:5], -v[6:7]
	v_add_f64_e64 v[6:7], v[8:9], -v[10:11]
	v_mov_b32_e32 v86, v105
	v_mad_co_u64_u32 v[63:64], null, s17, v127, v[64:65]
	v_mov_b32_e32 v90, v72
	v_lshlrev_b64_e32 v[56:57], 4, v[87:88]
	s_delay_alu instid0(VALU_DEP_4)
	v_lshlrev_b64_e32 v[50:51], 4, v[85:86]
	v_mov_b32_e32 v94, v73
	v_lshlrev_b64_e32 v[52:53], 4, v[52:53]
	v_lshlrev_b64_e32 v[58:59], 4, v[89:90]
	v_mov_b32_e32 v92, v63
	v_add_f64_e32 v[8:9], v[70:71], v[24:25]
	v_add_f64_e32 v[10:11], v[97:98], v[48:49]
	;; [unrolled: 1-line block ×5, first 2 shown]
	v_add_f64_e64 v[24:25], v[70:71], -v[24:25]
	v_add_f64_e32 v[18:19], v[38:39], v[46:47]
	v_add_f64_e32 v[20:21], v[74:75], v[36:37]
	;; [unrolled: 1-line block ×3, first 2 shown]
	v_add_f64_e64 v[26:27], v[97:98], -v[48:49]
	v_add_f64_e64 v[28:29], v[79:80], -v[28:29]
	;; [unrolled: 1-line block ×7, first 2 shown]
	v_add_co_u32 v40, vcc_lo, v42, v50
	s_wait_alu 0xfffd
	v_add_co_ci_u32_e32 v41, vcc_lo, v43, v51, vcc_lo
	v_lshlrev_b64_e32 v[60:61], 4, v[91:92]
	v_add_co_u32 v44, vcc_lo, v42, v56
	s_wait_alu 0xfffd
	v_add_co_ci_u32_e32 v45, vcc_lo, v43, v57, vcc_lo
	v_lshlrev_b64_e32 v[62:63], 4, v[93:94]
	v_add_co_u32 v46, vcc_lo, v42, v58
	s_wait_alu 0xfffd
	v_add_co_ci_u32_e32 v47, vcc_lo, v43, v59, vcc_lo
	v_add_co_u32 v48, vcc_lo, v42, v60
	s_wait_alu 0xfffd
	v_add_co_ci_u32_e32 v49, vcc_lo, v43, v61, vcc_lo
	v_lshlrev_b64_e32 v[64:65], 4, v[81:82]
	v_add_co_u32 v50, vcc_lo, v42, v62
	s_wait_alu 0xfffd
	v_add_co_ci_u32_e32 v51, vcc_lo, v43, v63, vcc_lo
	v_add_co_u32 v52, vcc_lo, v42, v52
	s_wait_alu 0xfffd
	v_add_co_ci_u32_e32 v53, vcc_lo, v43, v53, vcc_lo
	;; [unrolled: 3-line block ×3, first 2 shown]
	s_clause 0x9
	global_store_b128 v[54:55], v[0:3], off
	global_store_b128 v[66:67], v[8:11], off
	;; [unrolled: 1-line block ×10, first 2 shown]
.LBB0_26:
	s_nop 0
	s_sendmsg sendmsg(MSG_DEALLOC_VGPRS)
	s_endpgm
	.section	.rodata,"a",@progbits
	.p2align	6, 0x0
	.amdhsa_kernel fft_rtc_back_len1600_factors_10_16_10_wgs_200_tpt_100_halfLds_dp_op_CI_CI_sbrr_dirReg
		.amdhsa_group_segment_fixed_size 0
		.amdhsa_private_segment_fixed_size 0
		.amdhsa_kernarg_size 104
		.amdhsa_user_sgpr_count 2
		.amdhsa_user_sgpr_dispatch_ptr 0
		.amdhsa_user_sgpr_queue_ptr 0
		.amdhsa_user_sgpr_kernarg_segment_ptr 1
		.amdhsa_user_sgpr_dispatch_id 0
		.amdhsa_user_sgpr_private_segment_size 0
		.amdhsa_wavefront_size32 1
		.amdhsa_uses_dynamic_stack 0
		.amdhsa_enable_private_segment 0
		.amdhsa_system_sgpr_workgroup_id_x 1
		.amdhsa_system_sgpr_workgroup_id_y 0
		.amdhsa_system_sgpr_workgroup_id_z 0
		.amdhsa_system_sgpr_workgroup_info 0
		.amdhsa_system_vgpr_workitem_id 0
		.amdhsa_next_free_vgpr 188
		.amdhsa_next_free_sgpr 43
		.amdhsa_reserve_vcc 1
		.amdhsa_float_round_mode_32 0
		.amdhsa_float_round_mode_16_64 0
		.amdhsa_float_denorm_mode_32 3
		.amdhsa_float_denorm_mode_16_64 3
		.amdhsa_fp16_overflow 0
		.amdhsa_workgroup_processor_mode 1
		.amdhsa_memory_ordered 1
		.amdhsa_forward_progress 0
		.amdhsa_round_robin_scheduling 0
		.amdhsa_exception_fp_ieee_invalid_op 0
		.amdhsa_exception_fp_denorm_src 0
		.amdhsa_exception_fp_ieee_div_zero 0
		.amdhsa_exception_fp_ieee_overflow 0
		.amdhsa_exception_fp_ieee_underflow 0
		.amdhsa_exception_fp_ieee_inexact 0
		.amdhsa_exception_int_div_zero 0
	.end_amdhsa_kernel
	.text
.Lfunc_end0:
	.size	fft_rtc_back_len1600_factors_10_16_10_wgs_200_tpt_100_halfLds_dp_op_CI_CI_sbrr_dirReg, .Lfunc_end0-fft_rtc_back_len1600_factors_10_16_10_wgs_200_tpt_100_halfLds_dp_op_CI_CI_sbrr_dirReg
                                        ; -- End function
	.section	.AMDGPU.csdata,"",@progbits
; Kernel info:
; codeLenInByte = 12616
; NumSgprs: 45
; NumVgprs: 188
; ScratchSize: 0
; MemoryBound: 1
; FloatMode: 240
; IeeeMode: 1
; LDSByteSize: 0 bytes/workgroup (compile time only)
; SGPRBlocks: 5
; VGPRBlocks: 23
; NumSGPRsForWavesPerEU: 45
; NumVGPRsForWavesPerEU: 188
; Occupancy: 8
; WaveLimiterHint : 1
; COMPUTE_PGM_RSRC2:SCRATCH_EN: 0
; COMPUTE_PGM_RSRC2:USER_SGPR: 2
; COMPUTE_PGM_RSRC2:TRAP_HANDLER: 0
; COMPUTE_PGM_RSRC2:TGID_X_EN: 1
; COMPUTE_PGM_RSRC2:TGID_Y_EN: 0
; COMPUTE_PGM_RSRC2:TGID_Z_EN: 0
; COMPUTE_PGM_RSRC2:TIDIG_COMP_CNT: 0
	.text
	.p2alignl 7, 3214868480
	.fill 96, 4, 3214868480
	.type	__hip_cuid_f0d3f6dd17c18b19,@object ; @__hip_cuid_f0d3f6dd17c18b19
	.section	.bss,"aw",@nobits
	.globl	__hip_cuid_f0d3f6dd17c18b19
__hip_cuid_f0d3f6dd17c18b19:
	.byte	0                               ; 0x0
	.size	__hip_cuid_f0d3f6dd17c18b19, 1

	.ident	"AMD clang version 19.0.0git (https://github.com/RadeonOpenCompute/llvm-project roc-6.4.0 25133 c7fe45cf4b819c5991fe208aaa96edf142730f1d)"
	.section	".note.GNU-stack","",@progbits
	.addrsig
	.addrsig_sym __hip_cuid_f0d3f6dd17c18b19
	.amdgpu_metadata
---
amdhsa.kernels:
  - .args:
      - .actual_access:  read_only
        .address_space:  global
        .offset:         0
        .size:           8
        .value_kind:     global_buffer
      - .offset:         8
        .size:           8
        .value_kind:     by_value
      - .actual_access:  read_only
        .address_space:  global
        .offset:         16
        .size:           8
        .value_kind:     global_buffer
      - .actual_access:  read_only
        .address_space:  global
        .offset:         24
        .size:           8
        .value_kind:     global_buffer
      - .actual_access:  read_only
        .address_space:  global
        .offset:         32
        .size:           8
        .value_kind:     global_buffer
      - .offset:         40
        .size:           8
        .value_kind:     by_value
      - .actual_access:  read_only
        .address_space:  global
        .offset:         48
        .size:           8
        .value_kind:     global_buffer
      - .actual_access:  read_only
        .address_space:  global
        .offset:         56
        .size:           8
        .value_kind:     global_buffer
      - .offset:         64
        .size:           4
        .value_kind:     by_value
      - .actual_access:  read_only
        .address_space:  global
        .offset:         72
        .size:           8
        .value_kind:     global_buffer
      - .actual_access:  read_only
        .address_space:  global
        .offset:         80
        .size:           8
        .value_kind:     global_buffer
      - .actual_access:  read_only
        .address_space:  global
        .offset:         88
        .size:           8
        .value_kind:     global_buffer
      - .actual_access:  write_only
        .address_space:  global
        .offset:         96
        .size:           8
        .value_kind:     global_buffer
    .group_segment_fixed_size: 0
    .kernarg_segment_align: 8
    .kernarg_segment_size: 104
    .language:       OpenCL C
    .language_version:
      - 2
      - 0
    .max_flat_workgroup_size: 200
    .name:           fft_rtc_back_len1600_factors_10_16_10_wgs_200_tpt_100_halfLds_dp_op_CI_CI_sbrr_dirReg
    .private_segment_fixed_size: 0
    .sgpr_count:     45
    .sgpr_spill_count: 0
    .symbol:         fft_rtc_back_len1600_factors_10_16_10_wgs_200_tpt_100_halfLds_dp_op_CI_CI_sbrr_dirReg.kd
    .uniform_work_group_size: 1
    .uses_dynamic_stack: false
    .vgpr_count:     188
    .vgpr_spill_count: 0
    .wavefront_size: 32
    .workgroup_processor_mode: 1
amdhsa.target:   amdgcn-amd-amdhsa--gfx1201
amdhsa.version:
  - 1
  - 2
...

	.end_amdgpu_metadata
